;; amdgpu-corpus repo=zjin-lcf/HeCBench kind=compiled arch=gfx90a opt=O3
	.text
	.amdgcn_target "amdgcn-amd-amdhsa--gfx90a"
	.amdhsa_code_object_version 6
	.p2align	2                               ; -- Begin function _Z17MT_generate_arrayv
	.type	_Z17MT_generate_arrayv,@function
_Z17MT_generate_arrayv:                 ; @_Z17MT_generate_arrayv
; %bb.0:
	s_waitcnt vmcnt(0) expcnt(0) lgkmcnt(0)
	v_and_b32_e32 v4, 0x3ff, v31
	v_lshrrev_b32_e32 v6, 5, v4
	v_lshlrev_b32_e32 v0, 4, v6
	ds_read_b128 v[0:3], v0 offset:17280
	v_and_b32_e32 v7, 31, v4
	v_lshlrev_b32_e32 v9, 7, v6
	s_waitcnt lgkmcnt(0)
	v_sub_u32_e32 v4, 0x65, v0
	v_min_i32_e32 v8, 0x60, v4
	v_cmp_lt_u32_e32 vcc, v7, v8
	s_and_saveexec_b64 s[4:5], vcc
	s_cbranch_execz .LBB0_3
; %bb.1:
	v_mul_u32_u24_e32 v4, 0x194, v6
	v_add_lshl_u32 v5, v0, v7, 2
	s_movk_i32 s6, 0x194
	v_add3_u32 v12, v4, v5, -4
	v_lshlrev_b32_e32 v4, 2, v7
	v_mul_u32_u24_e32 v5, 0x180, v6
	v_mad_u32_u24 v13, v6, s6, v4
	v_or_b32_e32 v4, v5, v4
	v_add_u32_e32 v10, 0x3140, v9
	v_add_u32_e32 v11, 0x3180, v9
	v_lshl_add_u32 v14, v0, 2, v13
	v_add_u32_e32 v15, 0x1940, v4
	s_mov_b32 s10, 0
	s_mov_b64 s[6:7], 0
	s_mov_b64 s[8:9], src_shared_base
	v_mov_b32_e32 v16, v7
.LBB0_2:                                ; =>This Inner Loop Header: Depth=1
	v_add_u32_e32 v4, s10, v13
	v_mov_b32_e32 v5, s9
	flat_load_dword v17, v[4:5] glc
	s_waitcnt vmcnt(0)
	v_add_u32_e32 v20, 4, v4
	v_mov_b32_e32 v21, s9
	v_add_u32_e32 v18, s10, v14
	v_mov_b32_e32 v19, s9
	flat_load_dword v22, v[20:21] glc
	s_waitcnt vmcnt(0)
	flat_load_dword v23, v[18:19] glc
	s_waitcnt vmcnt(0)
	v_add_u32_e32 v18, s10, v12
	v_add_u32_e32 v16, 32, v16
	v_cmp_ge_u32_e32 vcc, v16, v8
	s_waitcnt lgkmcnt(0)
	v_and_b32_e32 v17, v17, v3
	v_xor_b32_e32 v17, v17, v22
	v_lshrrev_b32_e32 v20, v2, v23
	v_lshlrev_b32_e32 v21, v1, v17
	v_xor_b32_e32 v20, v20, v21
	v_xor_b32_e32 v17, v20, v17
	v_and_b32_e32 v20, 15, v17
	v_lshl_add_u32 v20, v20, 2, v10
	ds_read_b32 v20, v20
	flat_load_dword v21, v[18:19] glc
	s_waitcnt vmcnt(0)
	v_add_u32_e32 v18, s10, v15
	s_addk_i32 s10, 0x80
	s_or_b64 s[6:7], vcc, s[6:7]
	s_waitcnt lgkmcnt(0)
	v_xor_b32_e32 v17, v17, v20
	v_lshrrev_b32_e32 v20, 9, v17
	v_xor_b32_sdwa v21, v21, v21 dst_sel:DWORD dst_unused:UNUSED_PAD src0_sel:WORD_1 src1_sel:DWORD
	v_lshrrev_b32_e32 v22, 8, v21
	v_xor_b32_e32 v21, v22, v21
	v_and_b32_e32 v21, 15, v21
	v_lshl_add_u32 v21, v21, 2, v11
	ds_read_b32 v21, v21
	s_waitcnt lgkmcnt(0)
	v_xor_b32_e32 v20, v20, v21
	v_or_b32_e32 v20, 1, v20
	v_add_f32_e32 v20, -1.0, v20
	flat_store_dword v[18:19], v20
	s_waitcnt vmcnt(0)
	flat_store_dword v[4:5], v17
	s_waitcnt vmcnt(0)
	s_andn2_b64 exec, exec, s[6:7]
	s_cbranch_execnz .LBB0_2
.LBB0_3:
	s_or_b64 exec, exec, s[4:5]
	v_add_u32_e32 v4, v8, v7
	s_movk_i32 s12, 0x65
	v_cmp_gt_i32_e32 vcc, s12, v4
	s_and_saveexec_b64 s[4:5], vcc
	s_cbranch_execz .LBB0_8
; %bb.4:
	v_add_u32_e32 v5, v0, v8
	v_subrev_u32_e32 v12, 32, v4
	v_add_lshl_u32 v5, v5, v7, 2
	s_movk_i32 s6, 0x194
	v_lshlrev_b32_e32 v4, 2, v4
	v_mad_u32_u24 v7, v6, s6, v5
	v_mad_u32_u24 v8, v6, s6, v4
	v_mul_u32_u24_e32 v5, 0x180, v6
	s_movk_i32 s6, 0x1940
	s_mov_b64 s[8:9], src_shared_base
	v_add_u32_e32 v10, 0x3140, v9
	v_add_u32_e32 v9, 0x3180, v9
	v_add3_u32 v6, v5, v4, s6
	s_mov_b32 s13, 0
	s_mov_b64 s[6:7], 0
	s_movk_i32 s8, 0x44
	v_mov_b32_e32 v11, 0xfffffe6c
	s_movk_i32 s14, 0x60
	s_branch .LBB0_6
.LBB0_5:                                ;   in Loop: Header=BB0_6 Depth=1
	s_or_b64 exec, exec, s[10:11]
	s_addk_i32 s13, 0x80
	v_cmp_lt_i32_e32 vcc, s8, v12
	s_or_b64 s[6:7], vcc, s[6:7]
	flat_store_dword v[4:5], v13
	s_waitcnt vmcnt(0)
	s_andn2_b64 exec, exec, s[6:7]
	s_cbranch_execz .LBB0_8
.LBB0_6:                                ; =>This Inner Loop Header: Depth=1
	v_mov_b32_e32 v16, v12
	v_cmp_eq_u32_e32 vcc, s8, v16
	v_add_u32_e32 v4, s13, v8
	v_cndmask_b32_e32 v12, 0, v11, vcc
	v_mov_b32_e32 v5, s9
	v_add3_u32 v12, v4, v12, 4
	v_mov_b32_e32 v13, s9
	v_add_u32_e32 v14, v0, v16
	flat_load_dword v17, v[4:5] glc
	s_waitcnt vmcnt(0)
	flat_load_dword v18, v[12:13] glc
	s_waitcnt vmcnt(0)
	v_add_u32_e32 v12, 32, v14
	v_cmp_gt_u32_e32 vcc, s12, v12
	v_cndmask_b32_e64 v12, v11, 0, vcc
	v_add_u32_e32 v15, s13, v7
	v_add_u32_e32 v12, v15, v12
	flat_load_dword v12, v[12:13] glc
	s_waitcnt vmcnt(0) lgkmcnt(0)
	v_and_b32_e32 v13, v17, v3
	v_xor_b32_e32 v13, v13, v18
	v_lshlrev_b32_e32 v17, v1, v13
	v_lshrrev_b32_e32 v12, v2, v12
	v_xor_b32_e32 v12, v12, v17
	v_xor_b32_e32 v13, v12, v13
	v_and_b32_e32 v12, 15, v13
	v_lshl_add_u32 v12, v12, 2, v10
	ds_read_b32 v17, v12
	v_add_u32_e32 v12, 32, v16
	v_cmp_gt_i32_e32 vcc, s14, v12
	s_waitcnt lgkmcnt(0)
	v_xor_b32_e32 v13, v13, v17
	s_and_saveexec_b64 s[10:11], vcc
	s_cbranch_execz .LBB0_5
; %bb.7:                                ;   in Loop: Header=BB0_6 Depth=1
	v_add_u32_e32 v14, 31, v14
	v_cmp_gt_u32_e32 vcc, s12, v14
	v_cndmask_b32_e64 v14, v11, 0, vcc
	v_add3_u32 v14, v15, v14, -4
	v_mov_b32_e32 v15, s9
	flat_load_dword v14, v[14:15] glc
	s_waitcnt vmcnt(0) lgkmcnt(0)
	v_xor_b32_sdwa v14, v14, v14 dst_sel:DWORD dst_unused:UNUSED_PAD src0_sel:WORD_1 src1_sel:DWORD
	v_lshrrev_b32_e32 v16, 8, v14
	v_xor_b32_e32 v14, v16, v14
	v_and_b32_e32 v14, 15, v14
	v_lshl_add_u32 v14, v14, 2, v9
	ds_read_b32 v14, v14
	v_lshrrev_b32_e32 v16, 9, v13
	s_waitcnt lgkmcnt(0)
	v_xor_b32_e32 v14, v14, v16
	v_or_b32_e32 v14, 1, v14
	v_add_f32_e32 v16, -1.0, v14
	v_add_u32_e32 v14, s13, v6
	flat_store_dword v[14:15], v16
	s_waitcnt vmcnt(0)
	s_branch .LBB0_5
.LBB0_8:
	s_or_b64 exec, exec, s[4:5]
	s_waitcnt lgkmcnt(0)
	s_setpc_b64 s[30:31]
.Lfunc_end0:
	.size	_Z17MT_generate_arrayv, .Lfunc_end0-_Z17MT_generate_arrayv
                                        ; -- End function
	.section	.AMDGPU.csdata,"",@progbits
; Function info:
; codeLenInByte = 868
; NumSgprs: 36
; NumVgprs: 32
; NumAgprs: 0
; TotalNumVgprs: 32
; ScratchSize: 0
; MemoryBound: 0
	.text
	.protected	_Z22simulation_step_kernelbb ; -- Begin function _Z22simulation_step_kernelbb
	.globl	_Z22simulation_step_kernelbb
	.p2align	8
	.type	_Z22simulation_step_kernelbb,@function
_Z22simulation_step_kernelbb:           ; @_Z22simulation_step_kernelbb
; %bb.0:
	s_mov_b64 s[16:17], s[4:5]
	s_load_dword s4, s[4:5], 0x8
	s_add_u32 flat_scratch_lo, s6, s10
	s_addc_u32 flat_scratch_hi, s7, 0
	s_add_u32 s0, s0, s10
	s_addc_u32 s1, s1, 0
	s_add_u32 s12, s16, 8
	s_waitcnt lgkmcnt(0)
	s_mul_i32 s5, s4, s9
	s_addc_u32 s13, s17, 0
	s_add_i32 s28, s5, s8
	s_cmp_lt_u32 s8, s4
	s_cselect_b32 s4, 12, 18
	s_add_u32 s4, s12, s4
	s_addc_u32 s5, s13, 0
	v_mov_b32_e32 v1, 0
	global_load_ushort v2, v1, s[4:5]
	s_getpc_b64 s[4:5]
	s_add_u32 s4, s4, detector@rel32@lo+28
	s_addc_u32 s5, s5, detector@rel32@hi+36
	s_load_dwordx2 s[4:5], s[4:5], 0x0
	v_mov_b32_e32 v31, v0
	s_mov_b32 s29, 0
	s_movk_i32 s32, 0x2c00
	s_waitcnt lgkmcnt(0)
	s_mul_i32 s18, s5, s4
	v_cmp_gt_u32_e32 vcc, s18, v31
	s_and_saveexec_b64 s[4:5], vcc
	s_cbranch_execz .LBB1_9
; %bb.1:
	s_lshl_b64 s[8:9], s[28:29], 5
	s_getpc_b64 s[6:7]
	s_add_u32 s6, s6, detector_scores_count@rel32@lo+4
	s_addc_u32 s7, s7, detector_scores_count@rel32@hi+12
	s_add_u32 s6, s8, s6
	s_addc_u32 s7, s9, s7
	s_getpc_b64 s[14:15]
	s_add_u32 s14, s14, detector_scores_energy@rel32@lo+4
	s_addc_u32 s15, s15, detector_scores_energy@rel32@hi+12
	s_add_u32 s8, s8, s14
	s_addc_u32 s9, s9, s15
	s_load_dwordx2 s[10:11], s[6:7], 0x0
	s_load_dword s19, s[12:13], 0xc
	s_mov_b64 s[14:15], 0
	s_load_dwordx2 s[12:13], s[8:9], 0x0
	v_mov_b32_e32 v0, v31
	s_waitcnt lgkmcnt(0)
	v_mov_b32_e32 v3, s11
	s_and_b32 s19, s19, 0xffff
	v_mov_b32_e32 v4, s13
.LBB1_2:                                ; =>This Inner Loop Header: Depth=1
	v_lshlrev_b64 v[6:7], 2, v[0:1]
	v_add_co_u32_e32 v8, vcc, s10, v6
	v_addc_co_u32_e32 v9, vcc, v3, v7, vcc
	v_add_co_u32_e32 v6, vcc, s12, v6
	v_add_u32_e32 v0, s19, v0
	v_addc_co_u32_e32 v7, vcc, v4, v7, vcc
	v_cmp_le_u32_e32 vcc, s18, v0
	s_or_b64 s[14:15], vcc, s[14:15]
	global_store_dword v[8:9], v1, off
	global_store_dword v[6:7], v1, off
	s_andn2_b64 exec, exec, s[14:15]
	s_cbranch_execnz .LBB1_2
; %bb.3:
	s_or_b64 exec, exec, s[14:15]
	s_load_dwordx2 s[10:11], s[6:7], 0x8
	s_load_dwordx2 s[14:15], s[8:9], 0x8
	s_mov_b64 s[12:13], 0
	v_mov_b32_e32 v1, 0
	v_mov_b32_e32 v0, v31
	s_waitcnt lgkmcnt(0)
	v_mov_b32_e32 v3, s11
	v_mov_b32_e32 v4, s15
.LBB1_4:                                ; =>This Inner Loop Header: Depth=1
	v_lshlrev_b64 v[6:7], 2, v[0:1]
	v_add_co_u32_e32 v8, vcc, s10, v6
	v_addc_co_u32_e32 v9, vcc, v3, v7, vcc
	v_add_co_u32_e32 v6, vcc, s14, v6
	v_add_u32_e32 v0, s19, v0
	v_addc_co_u32_e32 v7, vcc, v4, v7, vcc
	v_cmp_le_u32_e32 vcc, s18, v0
	s_or_b64 s[12:13], vcc, s[12:13]
	global_store_dword v[8:9], v1, off
	global_store_dword v[6:7], v1, off
	s_andn2_b64 exec, exec, s[12:13]
	s_cbranch_execnz .LBB1_4
; %bb.5:
	s_or_b64 exec, exec, s[12:13]
	s_load_dwordx2 s[10:11], s[6:7], 0x10
	s_load_dwordx2 s[14:15], s[8:9], 0x10
	s_mov_b64 s[12:13], 0
	v_mov_b32_e32 v1, 0
	v_mov_b32_e32 v0, v31
	s_waitcnt lgkmcnt(0)
	v_mov_b32_e32 v3, s11
	;; [unrolled: 23-line block ×3, first 2 shown]
	v_mov_b32_e32 v4, s13
.LBB1_8:                                ; =>This Inner Loop Header: Depth=1
	v_lshlrev_b64 v[6:7], 2, v[0:1]
	v_add_co_u32_e32 v8, vcc, s10, v6
	v_addc_co_u32_e32 v9, vcc, v3, v7, vcc
	v_add_co_u32_e32 v6, vcc, s12, v6
	v_add_u32_e32 v0, s19, v0
	v_addc_co_u32_e32 v7, vcc, v4, v7, vcc
	v_cmp_le_u32_e32 vcc, s18, v0
	s_or_b64 s[6:7], vcc, s[6:7]
	global_store_dword v[8:9], v1, off
	global_store_dword v[6:7], v1, off
	s_andn2_b64 exec, exec, s[6:7]
	s_cbranch_execnz .LBB1_8
.LBB1_9:
	s_or_b64 exec, exec, s[4:5]
	v_lshrrev_b32_e32 v78, 5, v31
	v_mov_b32_e32 v0, 0x4140
	v_and_b32_e32 v126, 31, v31
	v_mad_u32_u24 v44, v78, 36, v0
	v_cmp_gt_u16_e32 vcc, 9, v126
	s_barrier
	s_and_saveexec_b64 s[4:5], vcc
	s_cbranch_execz .LBB1_11
; %bb.10:
	s_mov_b64 s[6:7], src_shared_base
	v_lshl_add_u32 v0, v126, 2, v44
	v_mov_b32_e32 v1, s7
	v_mov_b32_e32 v3, 0
	flat_store_dword v[0:1], v3
	s_waitcnt vmcnt(0)
.LBB1_11:
	s_or_b64 exec, exec, s[4:5]
	v_cmp_eq_u16_e64 s[18:19], 0, v126
	v_lshlrev_b32_e32 v28, 2, v78
	s_and_saveexec_b64 s[4:5], s[18:19]
	s_cbranch_execz .LBB1_13
; %bb.12:
	s_mov_b64 s[6:7], src_shared_base
	v_mov_b32_e32 v3, 0x4480
	v_mov_b32_e32 v8, 0
	v_lshl_add_u32 v6, v78, 3, v3
	v_mov_b32_e32 v7, s7
	v_mov_b32_e32 v9, v8
	v_add_u32_e32 v0, 0x4540, v28
	v_mov_b32_e32 v1, s7
	v_or_b32_e32 v4, 0x4500, v28
	v_mov_b32_e32 v5, s7
	flat_store_dwordx2 v[6:7], v[8:9]
	s_waitcnt vmcnt(0)
	flat_store_dword v[4:5], v8
	s_waitcnt vmcnt(0)
	flat_store_dword v[0:1], v8
	s_waitcnt vmcnt(0)
.LBB1_13:
	s_or_b64 exec, exec, s[4:5]
	v_lshl_add_u32 v36, s28, 4, v78
	s_and_saveexec_b64 s[4:5], s[18:19]
	s_cbranch_execz .LBB1_15
; %bb.14:
	s_getpc_b64 s[6:7]
	s_add_u32 s6, s6, MT_params@rel32@lo+4
	s_addc_u32 s7, s7, MT_params@rel32@hi+12
	s_load_dwordx2 s[6:7], s[6:7], 0x0
	v_mov_b32_e32 v37, 0
	v_lshlrev_b64 v[0:1], 4, v[36:37]
	s_waitcnt lgkmcnt(0)
	v_mov_b32_e32 v3, s7
	v_add_co_u32_e32 v0, vcc, s6, v0
	v_addc_co_u32_e32 v1, vcc, v3, v1, vcc
	global_load_dwordx4 v[4:7], v[0:1], off
	s_mov_b64 s[6:7], src_shared_base
	v_lshlrev_b32_e32 v3, 4, v78
	v_or_b32_e32 v0, 0x4580, v78
	v_mov_b32_e32 v1, s7
	v_add_u32_e32 v8, 0x4380, v3
	v_add_u32_e32 v3, 0x4388, v3
	s_waitcnt vmcnt(0)
	ds_write2_b32 v3, v6, v7 offset1:1
	ds_write2_b32 v8, v4, v5 offset1:1
	flat_store_byte v[0:1], v37
	s_waitcnt vmcnt(0)
.LBB1_15:
	s_or_b64 exec, exec, s[4:5]
	s_getpc_b64 s[4:5]
	s_add_u32 s4, s4, MT_statuses@rel32@lo+4
	s_addc_u32 s5, s5, MT_statuses@rel32@hi+12
	s_load_dwordx2 s[4:5], s[4:5], 0x0
	v_lshlrev_b32_e32 v79, 2, v126
	s_movk_i32 s6, 0x194
	v_mad_u32_u24 v76, v78, s6, v79
	v_lshlrev_b32_e32 v3, 7, v36
	s_mov_b64 s[6:7], 0
	v_mov_b32_e32 v1, 0
	s_waitcnt lgkmcnt(0)
	v_mov_b32_e32 v4, s5
	s_movk_i32 s5, 0x44
	v_mov_b32_e32 v5, v76
	v_mov_b32_e32 v6, v126
.LBB1_16:                               ; =>This Inner Loop Header: Depth=1
	v_add_u32_e32 v0, v3, v6
	v_lshlrev_b64 v[8:9], 2, v[0:1]
	v_add_co_u32_e32 v8, vcc, s4, v8
	v_addc_co_u32_e32 v9, vcc, v4, v9, vcc
	global_load_dword v0, v[8:9], off
	v_add_u32_e32 v7, 32, v6
	v_cmp_lt_u32_e32 vcc, s5, v6
	s_or_b64 s[6:7], vcc, s[6:7]
	v_mov_b32_e32 v6, v7
	s_waitcnt vmcnt(0)
	ds_write_b32 v5, v0
	v_add_u32_e32 v5, 0x80, v5
	s_andn2_b64 exec, exec, s[6:7]
	s_cbranch_execnz .LBB1_16
; %bb.17:
	s_or_b64 exec, exec, s[6:7]
	s_load_dword s4, s[16:17], 0x0
	v_mov_b32_e32 v37, 0
	v_lshlrev_b64 v[0:1], 7, v[36:37]
	v_mov_b32_e32 v80, 2
	v_lshlrev_b32_e32 v77, 7, v78
	s_waitcnt lgkmcnt(0)
	s_bitcmp1_b32 s4, 0
	s_cselect_b64 s[20:21], -1, 0
	s_bitcmp1_b32 s4, 8
	s_cselect_b64 s[34:35], -1, 0
	s_getpc_b64 s[4:5]
	s_add_u32 s4, s4, MT_tables@rel32@lo+4
	s_addc_u32 s5, s5, MT_tables@rel32@hi+12
	s_load_dwordx2 s[4:5], s[4:5], 0x0
	s_add_u32 s8, s16, 8
	s_addc_u32 s9, s17, 0
	s_mov_b32 s61, 0
	v_add_u32_e32 v46, 0x3940, v77
	s_waitcnt lgkmcnt(0)
	v_mov_b32_e32 v3, s5
	v_add_co_u32_e32 v0, vcc, s4, v0
	v_addc_co_u32_e32 v1, vcc, v3, v1, vcc
	v_lshlrev_b32_sdwa v3, v80, v126 dst_sel:DWORD dst_unused:UNUSED_PAD src0_sel:DWORD src1_sel:WORD_0
	v_add_co_u32_e32 v0, vcc, v0, v3
	v_addc_co_u32_e32 v1, vcc, 0, v1, vcc
	global_load_dword v0, v[0:1], off
	v_and_b32_e32 v1, 0xffff, v2
	s_mov_b64 s[4:5], src_shared_base
	v_mul_lo_u32 v1, s28, v1
	v_or_b32_e32 v2, v77, v79
	v_mov_b32_e32 v45, s5
	v_add_u32_e32 v24, v1, v31
	s_getpc_b64 s[4:5]
	s_add_u32 s4, s4, _Z17MT_generate_arrayv@rel32@lo+4
	s_addc_u32 s5, s5, _Z17MT_generate_arrayv@rel32@hi+12
	s_waitcnt vmcnt(0)
	ds_write_b32 v2, v0 offset:12608
	s_swappc_b64 s[30:31], s[4:5]
	s_getpc_b64 s[4:5]
	s_add_u32 s4, s4, stack@rel32@lo+4
	s_addc_u32 s5, s5, stack@rel32@hi+12
	s_load_dwordx4 s[8:11], s[4:5], 0x0
	v_mov_b32_e32 v25, v37
	v_lshlrev_b64 v[4:5], 4, v[24:25]
	s_getpc_b64 s[6:7]
	s_add_u32 s6, s6, region_data@rel32@lo+4
	s_addc_u32 s7, s7, region_data@rel32@hi+12
                                        ; implicit-def: $vgpr127 : SGPR spill to VGPR lane
	s_load_dwordx2 s[4:5], s[4:5], 0x10
	s_waitcnt lgkmcnt(0)
	v_mov_b32_e32 v0, s9
	v_add_co_u32_e32 v2, vcc, s8, v4
	v_addc_co_u32_e32 v3, vcc, v0, v5, vcc
	buffer_store_dword v2, off, s[0:3], 0 offset:108 ; 4-byte Folded Spill
	s_nop 0
	buffer_store_dword v3, off, s[0:3], 0 offset:112 ; 4-byte Folded Spill
	v_mov_b32_e32 v6, s11
	v_add_co_u32_e32 v8, vcc, s10, v4
	v_addc_co_u32_e32 v9, vcc, v6, v5, vcc
	s_getpc_b64 s[8:9]
	s_add_u32 s8, s8, ge@rel32@lo+4
	s_addc_u32 s9, s9, ge@rel32@hi+12
	s_getpc_b64 s[10:11]
	s_add_u32 s10, s10, gmfp@rel32@lo+4
	s_addc_u32 s11, s11, gmfp@rel32@hi+12
	s_getpc_b64 s[12:13]
	s_add_u32 s12, s12, cohe@rel32@lo+4
	s_addc_u32 s13, s13, cohe@rel32@hi+12
	s_getpc_b64 s[14:15]
	s_add_u32 s14, s14, phantom@rel32@lo+4
	s_addc_u32 s15, s15, phantom@rel32@hi+12
	s_getpc_b64 s[22:23]
	s_add_u32 s22, s22, phantom@rel32@lo+20
	s_addc_u32 s23, s23, phantom@rel32@hi+28
	v_mov_b32_e32 v6, s5
	v_add_co_u32_e32 v4, vcc, s4, v4
                                        ; kill: killed $sgpr6_sgpr7
                                        ; kill: killed $sgpr8_sgpr9
                                        ; kill: killed $sgpr10_sgpr11
                                        ; kill: killed $sgpr12_sgpr13
                                        ; kill: killed $sgpr14_sgpr15
	v_addc_co_u32_e32 v5, vcc, v6, v5, vcc
	v_add_u32_e32 v10, 24, v44
	v_add_u32_e32 v12, 0x3944, v77
	v_mov_b32_e32 v11, v45
	v_mov_b32_e32 v13, v45
	v_add_u32_e32 v50, 0x4540, v28
	v_mov_b32_e32 v51, v45
	v_or_b32_e32 v52, 0x4580, v78
	v_mov_b32_e32 v53, v45
	v_add_u32_e32 v56, 8, v44
	v_mov_b32_e32 v57, v45
	v_or_b32_e32 v58, 0x4500, v28
	v_mov_b32_e32 v59, v45
	v_add_u32_e32 v60, v46, v79
	v_mov_b32_e32 v61, v45
	v_mov_b32_e32 v63, v45
	v_add_u32_e32 v64, 28, v44
	v_mov_b32_e32 v65, v45
	;; [unrolled: 3-line block ×3, first 2 shown]
	v_add_u32_e32 v96, 0x396c, v77
	v_mov_b32_e32 v97, v45
	v_add_u32_e32 v98, 0x3970, v77
	v_mov_b32_e32 v99, v45
	;; [unrolled: 2-line block ×21, first 2 shown]
	s_movk_i32 s78, 0x180
	global_load_dwordx4 v[0:3], v[2:3], off
	s_nop 0
	buffer_store_dword v8, off, s[0:3], 0 offset:116 ; 4-byte Folded Spill
	s_nop 0
	buffer_store_dword v9, off, s[0:3], 0 offset:120 ; 4-byte Folded Spill
	s_mov_b32 s79, 0x800000
	s_mov_b32 s68, 0x3f317217
	;; [unrolled: 1-line block ×3, first 2 shown]
	s_movk_i32 s94, 0xc8
	s_mov_b32 s95, 0x3727c5ac
	s_mov_b32 s96, 0xf800000
	;; [unrolled: 1-line block ×6, first 2 shown]
	v_mov_b32_e32 v82, 0x260
	v_mov_b32_e32 v83, 8
	v_mov_b32_e32 v84, 0x4f800000
	v_mov_b32_e32 v85, 0x41b17218
	v_mov_b32_e32 v86, 7
	v_mov_b32_e32 v87, 0x7f800000
                                        ; kill: killed $sgpr22_sgpr23
	global_load_dwordx4 v[24:27], v[8:9], off
	s_load_dwordx2 s[62:63], s[6:7], 0x0
	s_load_dwordx2 s[24:25], s[8:9], 0x0
	s_waitcnt vmcnt(3)
	v_lshrrev_b32_e32 v93, 8, v0
	v_lshrrev_b32_e32 v81, 16, v0
	v_mov_b32_e32 v48, v1
	v_mov_b32_e32 v49, v2
	s_waitcnt lgkmcnt(0)
	v_writelane_b32 v127, s24, 0
	v_writelane_b32 v127, s25, 1
	s_load_dwordx2 s[66:67], s[10:11], 0x0
	s_load_dwordx2 s[24:25], s[12:13], 0x0
	v_add_u32_e32 v8, 12, v44
	v_mov_b32_e32 v9, v45
	v_mov_b32_e32 v36, v3
	s_waitcnt lgkmcnt(0)
	v_writelane_b32 v127, s24, 2
	v_writelane_b32 v127, s25, 3
	s_load_dwordx4 s[24:27], s[14:15], 0x0
	s_load_dwordx4 s[36:39], s[22:23], 0x0
	s_load_dwordx2 s[70:71], s[22:23], 0x10
	s_waitcnt lgkmcnt(0)
	s_mov_b32 s27, s61
	s_mov_b32 s60, s24
	s_lshl_b64 s[4:5], s[60:61], 2
	s_add_u32 s72, s36, s4
	s_mov_b32 s60, s25
	s_addc_u32 s73, s37, s5
	s_add_i32 s4, s24, -1
	v_writelane_b32 v127, s4, 4
	s_lshl_b64 s[4:5], s[60:61], 2
	s_add_u32 s74, s38, s4
	s_addc_u32 s75, s39, s5
	s_cmp_eq_u32 s25, 1
	s_cselect_b64 s[4:5], -1, 0
	v_writelane_b32 v127, s4, 5
	s_cmp_lt_i32 s25, 2
	v_writelane_b32 v127, s5, 6
	s_cselect_b64 s[4:5], -1, 0
	v_writelane_b32 v127, s4, 7
	v_writelane_b32 v127, s5, 8
	s_lshl_b64 s[4:5], s[26:27], 2
	s_add_u32 s80, s70, s4
	s_addc_u32 s81, s71, s5
	s_cmp_eq_u32 s26, 1
	s_cselect_b64 s[4:5], -1, 0
	v_writelane_b32 v127, s4, 9
	s_cmp_lt_i32 s26, 2
	v_writelane_b32 v127, s5, 10
	s_cselect_b64 s[4:5], -1, 0
	v_writelane_b32 v127, s4, 11
	v_writelane_b32 v127, s5, 12
	s_add_i32 s4, s25, -1
	s_cmp_eq_u32 s24, 1
	v_writelane_b32 v127, s4, 13
	s_cselect_b64 s[4:5], -1, 0
	v_writelane_b32 v127, s4, 14
	s_cmp_lt_i32 s24, 2
	v_writelane_b32 v127, s5, 15
	s_cselect_b64 s[4:5], -1, 0
	v_writelane_b32 v127, s4, 16
	v_writelane_b32 v127, s5, 17
	s_add_i32 s4, s26, -1
	v_writelane_b32 v127, s4, 18
	s_getpc_b64 s[4:5]
	s_add_u32 s4, s4, gbr1@rel32@lo+4
	s_addc_u32 s5, s5, gbr1@rel32@hi+12
	s_getpc_b64 s[6:7]
	s_add_u32 s6, s6, gbr2@rel32@lo+4
	s_addc_u32 s7, s7, gbr2@rel32@hi+12
	s_getpc_b64 s[8:9]
	s_add_u32 s8, s8, source@rel32@lo+4
	s_addc_u32 s9, s9, source@rel32@hi+12
	s_getpc_b64 s[10:11]
	s_add_u32 s10, s10, source@rel32@lo+12
	s_addc_u32 s11, s11, source@rel32@hi+20
	s_load_dwordx2 s[90:91], s[4:5], 0x0
	s_load_dwordx2 s[92:93], s[6:7], 0x0
	s_getpc_b64 s[12:13]
	s_add_u32 s12, s12, source@rel32@lo+36
	s_addc_u32 s13, s13, source@rel32@hi+44
	s_load_dwordx2 s[4:5], s[10:11], 0x10
	s_getpc_b64 s[6:7]
	s_add_u32 s6, s6, source@rel32@lo+68
	s_addc_u32 s7, s7, source@rel32@hi+76
	s_load_dwordx4 s[48:51], s[6:7], 0x0
	s_getpc_b64 s[6:7]
	s_add_u32 s6, s6, detector@rel32@lo+4
	s_addc_u32 s7, s7, detector@rel32@hi+12
	s_mul_i32 s33, s25, s24
	s_waitcnt lgkmcnt(0)
	v_writelane_b32 v127, s4, 19
	v_writelane_b32 v127, s5, 20
	s_load_dwordx4 s[40:43], s[12:13], 0x0
	s_load_dword s4, s[8:9], 0x0
	s_load_dwordx4 s[44:47], s[10:11], 0x0
	s_mov_b32 s27, 0x3f82d11e
	s_load_dwordx2 s[8:9], s[12:13], 0x10
	s_waitcnt lgkmcnt(0)
	v_writelane_b32 v127, s8, 21
	v_writelane_b32 v127, s9, 22
	s_getpc_b64 s[8:9]
	s_add_u32 s8, s8, detector@rel32@lo+20
	s_addc_u32 s9, s9, detector@rel32@hi+28
	s_load_dwordx4 s[12:15], s[6:7], 0x0
	s_load_dwordx4 s[56:59], s[8:9], 0x0
	s_waitcnt vmcnt(0)
	v_mov_b32_e32 v54, v25
	v_cndmask_b32_e64 v25, v0, 7, s[20:21]
	v_mov_b32_e32 v0, s42
	v_sub_f32_e32 v6, s43, v0
	v_mov_b32_e32 v0, 0x4480
	v_lshl_add_u32 v62, v78, 3, v0
	s_waitcnt lgkmcnt(0)
	v_cvt_f32_u32_e32 v0, s58
	v_cvt_f32_u32_e32 v1, s59
	s_getpc_b64 s[6:7]
	s_add_u32 s6, s6, pmax@rel32@lo+4
	s_addc_u32 s7, s7, pmax@rel32@hi+12
	s_load_dwordx2 s[6:7], s[6:7], 0x0
	v_mul_f32_e32 v0, 0.5, v0
	buffer_store_dword v0, off, s[0:3], 0 offset:132 ; 4-byte Folded Spill
	v_mul_f32_e32 v0, 0.5, v1
	buffer_store_dword v0, off, s[0:3], 0 offset:136 ; 4-byte Folded Spill
	v_add_u32_e32 v0, 4, v44
	v_mov_b32_e32 v1, v45
	buffer_store_dword v0, off, s[0:3], 0 offset:92 ; 4-byte Folded Spill
	s_nop 0
	buffer_store_dword v1, off, s[0:3], 0 offset:96 ; 4-byte Folded Spill
	v_add_u32_e32 v0, 16, v44
	v_writelane_b32 v127, s12, 23
	v_writelane_b32 v127, s13, 24
	;; [unrolled: 1-line block ×4, first 2 shown]
	s_waitcnt lgkmcnt(0)
	v_writelane_b32 v127, s6, 27
	v_writelane_b32 v127, s7, 28
	s_getpc_b64 s[6:7]
	s_add_u32 s6, s6, i_array@rel32@lo+4
	s_addc_u32 s7, s7, i_array@rel32@hi+12
	s_sub_i32 s5, 0, s33
	s_load_dwordx2 s[98:99], s[6:7], 0x0
	v_mov_b32_e32 v55, v26
	s_movk_i32 s43, 0x61
	buffer_store_dword v0, off, s[0:3], 0 offset:100 ; 4-byte Folded Spill
	s_nop 0
	buffer_store_dword v1, off, s[0:3], 0 offset:104 ; 4-byte Folded Spill
	v_add_u32_e32 v0, 20, v44
	buffer_store_dword v0, off, s[0:3], 0 offset:140 ; 4-byte Folded Spill
	s_nop 0
	buffer_store_dword v1, off, s[0:3], 0 offset:144 ; 4-byte Folded Spill
	v_cvt_f32_u32_e32 v0, s33
	v_cvt_f32_u32_e32 v1, s24
	v_rcp_iflag_f32_e32 v0, v0
	v_rcp_iflag_f32_e32 v1, v1
	v_mul_f32_e32 v0, 0x4f7ffffe, v0
	v_cvt_u32_f32_e32 v0, v0
	v_mul_f32_e32 v1, 0x4f7ffffe, v1
	v_cvt_u32_f32_e32 v1, v1
	v_mul_lo_u32 v2, s5, v0
	v_mul_hi_u32 v2, v0, v2
	v_add_u32_e32 v0, v0, v2
	s_sub_i32 s5, 0, s24
	buffer_store_dword v0, off, s[0:3], 0 offset:12 ; 4-byte Folded Spill
	v_mul_lo_u32 v0, s5, v1
	v_mul_hi_u32 v0, v1, v0
	v_add_u32_e32 v0, v1, v0
	buffer_store_dword v0, off, s[0:3], 0 offset:16 ; 4-byte Folded Spill
	v_add_u32_e32 v0, 0x3948, v77
	v_mov_b32_e32 v1, v45
	buffer_store_dword v8, off, s[0:3], 0 offset:148 ; 4-byte Folded Spill
	s_nop 0
	buffer_store_dword v9, off, s[0:3], 0 offset:152 ; 4-byte Folded Spill
	buffer_store_dword v10, off, s[0:3], 0 offset:156 ; 4-byte Folded Spill
	s_nop 0
	buffer_store_dword v11, off, s[0:3], 0 offset:160 ; 4-byte Folded Spill
	;; [unrolled: 3-line block ×4, first 2 shown]
	v_add_u32_e32 v0, 0x394c, v77
	s_getpc_b64 s[6:7]
	s_add_u32 s6, s6, rayleigh_data@rel32@lo+4
	s_addc_u32 s7, s7, rayleigh_data@rel32@hi+12
	s_add_u32 s5, s36, 4
	s_load_dwordx2 s[52:53], s[6:7], 0x0
	s_addc_u32 s51, s37, 0
	s_add_u32 s87, s38, 4
	s_addc_u32 s88, s39, 0
	s_add_u32 s89, s70, 4
	s_addc_u32 s60, s71, 0
	s_waitcnt lgkmcnt(0)
	s_add_u32 s76, s52, 20
	v_writelane_b32 v127, s5, 29
	s_addc_u32 s77, s53, 0
	buffer_store_dword v0, off, s[0:3], 0 offset:28 ; 4-byte Folded Spill
	s_nop 0
	buffer_store_dword v1, off, s[0:3], 0 offset:32 ; 4-byte Folded Spill
	v_add_u32_e32 v0, 0x3950, v77
	buffer_store_dword v0, off, s[0:3], 0 offset:36 ; 4-byte Folded Spill
	s_nop 0
	buffer_store_dword v1, off, s[0:3], 0 offset:40 ; 4-byte Folded Spill
	v_add_u32_e32 v0, 0x3954, v77
	;; [unrolled: 4-line block ×6, first 2 shown]
	buffer_store_dword v0, off, s[0:3], 0 offset:76 ; 4-byte Folded Spill
	s_nop 0
	buffer_store_dword v1, off, s[0:3], 0 offset:80 ; 4-byte Folded Spill
	v_cvt_f32_u32_e32 v0, s4
	buffer_store_dword v0, off, s[0:3], 0 offset:84 ; 4-byte Folded Spill
	buffer_store_dword v6, off, s[0:3], 0   ; 4-byte Folded Spill
	v_mul_f32_e32 v0, v6, v6
	buffer_store_dword v0, off, s[0:3], 0 offset:88 ; 4-byte Folded Spill
	buffer_store_dword v4, off, s[0:3], 0 offset:124 ; 4-byte Folded Spill
	s_nop 0
	buffer_store_dword v5, off, s[0:3], 0 offset:128 ; 4-byte Folded Spill
	global_load_dwordx3 v[32:34], v[4:5], off
	s_branch .LBB1_19
.LBB1_18:                               ;   in Loop: Header=BB1_19 Depth=1
	s_add_i32 s61, s61, 1
	s_cmpk_eq_u32 s61, 0x8000
	v_mov_b32_e32 v35, v27
	s_mov_b64 s[4:5], 0
	s_cselect_b64 s[54:55], -1, 0
	s_andn2_b64 vcc, exec, s[54:55]
	s_cbranch_vccz .LBB1_398
.LBB1_19:                               ; =>This Loop Header: Depth=1
                                        ;     Child Loop BB1_80 Depth 2
                                        ;     Child Loop BB1_87 Depth 2
	;; [unrolled: 1-line block ×20, first 2 shown]
                                        ;       Child Loop BB1_354 Depth 3
                                        ;         Child Loop BB1_363 Depth 4
	s_and_saveexec_b64 s[4:5], s[18:19]
	s_cbranch_execz .LBB1_21
; %bb.20:                               ;   in Loop: Header=BB1_19 Depth=1
	flat_load_dword v0, v[50:51] glc
	s_waitcnt vmcnt(0) lgkmcnt(0)
	v_add_u32_e32 v0, 1, v0
	flat_store_dword v[50:51], v0
	s_waitcnt vmcnt(0)
.LBB1_21:                               ;   in Loop: Header=BB1_19 Depth=1
	s_or_b64 exec, exec, s[4:5]
	v_cmp_ne_u16_sdwa s[4:5], v25, v83 src0_sel:BYTE_0 src1_sel:DWORD
	s_or_b64 vcc, s[4:5], s[34:35]
	v_cndmask_b32_e32 v25, 7, v25, vcc
	v_cmp_eq_u16_sdwa s[20:21], v25, v80 src0_sel:BYTE_0 src1_sel:DWORD
	v_cndmask_b32_e64 v26, 0, 1, s[20:21]
	v_mov_b32_e32 v0, v26
	;;#ASMSTART
	;;#ASMEND
	v_cmp_ne_u32_e32 vcc, 0, v0
	s_cbranch_vccz .LBB1_175
; %bb.22:                               ;   in Loop: Header=BB1_19 Depth=1
	v_lshlrev_b64 v[0:1], 4, v[36:37]
	v_mov_b32_e32 v2, s63
	v_add_co_u32_e32 v0, vcc, s62, v0
	v_addc_co_u32_e32 v1, vcc, v2, v1, vcc
	global_load_dwordx3 v[28:30], v[0:1], off
	s_waitcnt vmcnt(0)
	v_mov_b32_e32 v69, v30
	v_mov_b32_e32 v68, v29
	s_and_saveexec_b64 s[4:5], s[20:21]
	s_cbranch_execz .LBB1_28
; %bb.23:                               ;   in Loop: Header=BB1_19 Depth=1
	v_cmp_nle_f32_e32 vcc, v48, v69
	v_mov_b32_e32 v25, 0
	s_and_saveexec_b64 s[6:7], vcc
	s_cbranch_execz .LBB1_27
; %bb.24:                               ;   in Loop: Header=BB1_19 Depth=1
	v_cmp_ge_f32_e32 vcc, 0, v49
	v_mov_b32_e32 v25, 2
	s_and_saveexec_b64 s[8:9], vcc
; %bb.25:                               ;   in Loop: Header=BB1_19 Depth=1
	v_mov_b32_e32 v25, 1
; %bb.26:                               ;   in Loop: Header=BB1_19 Depth=1
	s_or_b64 exec, exec, s[8:9]
.LBB1_27:                               ;   in Loop: Header=BB1_19 Depth=1
	s_or_b64 exec, exec, s[6:7]
.LBB1_28:                               ;   in Loop: Header=BB1_19 Depth=1
	s_or_b64 exec, exec, s[4:5]
	flat_load_ubyte v0, v[52:53] glc
	s_waitcnt vmcnt(0) lgkmcnt(0)
	v_cmp_lt_u32_e32 vcc, 1, v0
	v_add_u32_e32 v0, 1, v0
	s_and_saveexec_b64 s[22:23], vcc
	s_cbranch_execz .LBB1_30
; %bb.29:                               ;   in Loop: Header=BB1_19 Depth=1
	s_add_u32 s8, s16, 8
	s_addc_u32 s9, s17, 0
	s_getpc_b64 s[4:5]
	s_add_u32 s4, s4, _Z17MT_generate_arrayv@rel32@lo+4
	s_addc_u32 s5, s5, _Z17MT_generate_arrayv@rel32@hi+12
	s_swappc_b64 s[30:31], s[4:5]
	v_mov_b32_e32 v0, 0
.LBB1_30:                               ;   in Loop: Header=BB1_19 Depth=1
	s_or_b64 exec, exec, s[22:23]
	s_and_saveexec_b64 s[4:5], s[18:19]
	s_cbranch_execz .LBB1_32
; %bb.31:                               ;   in Loop: Header=BB1_19 Depth=1
	flat_store_byte v[52:53], v0
	s_waitcnt vmcnt(0)
.LBB1_32:                               ;   in Loop: Header=BB1_19 Depth=1
	s_or_b64 exec, exec, s[4:5]
	v_lshl_or_b32 v0, v0, 7, v79
	v_mad_u32_u24 v0, v78, s78, v0
	ds_read_b32 v0, v0 offset:6464
	v_lshrrev_b32_e32 v29, 16, v28
	v_mov_b32_e32 v66, 0
	v_mov_b32_e32 v35, 0
	;; [unrolled: 1-line block ×3, first 2 shown]
	s_waitcnt lgkmcnt(0)
	v_cmp_gt_f32_e32 vcc, s79, v0
	v_cndmask_b32_e32 v1, 1.0, v84, vcc
	v_mul_f32_e32 v0, v0, v1
	v_log_f32_e32 v0, v0
	v_mul_f32_e32 v1, 0x3f317217, v0
	v_fma_f32 v2, v0, s68, -v1
	v_fmac_f32_e32 v2, 0x3377d1cf, v0
	v_add_f32_e32 v1, v1, v2
	v_cmp_lt_f32_e64 s[4:5], |v0|, s69
	v_cndmask_b32_e64 v0, v0, v1, s[4:5]
	v_cndmask_b32_e32 v1, 0, v85, vcc
	v_cmp_gt_f32_e32 vcc, s79, v48
	v_sub_f32_e32 v3, v0, v1
	v_cndmask_b32_e32 v0, 1.0, v84, vcc
	v_mul_f32_e32 v0, v48, v0
	v_log_f32_e32 v0, v0
	v_xor_b32_e32 v10, 0x80000000, v3
	v_mul_f32_e32 v1, 0x3f317217, v0
	v_fma_f32 v2, v0, s68, -v1
	v_fmac_f32_e32 v2, 0x3377d1cf, v0
	v_add_f32_e32 v1, v1, v2
	v_cmp_lt_f32_e64 s[4:5], |v0|, s69
	v_cndmask_b32_e64 v0, v0, v1, s[4:5]
	v_cndmask_b32_e32 v1, 0, v85, vcc
	v_cmp_eq_u16_sdwa s[4:5], v25, v80 src0_sel:BYTE_0 src1_sel:DWORD
	v_sub_f32_e32 v30, v0, v1
	s_and_b64 s[4:5], s[20:21], s[4:5]
	s_and_saveexec_b64 s[10:11], s[4:5]
	s_cbranch_execz .LBB1_158
; %bb.33:                               ;   in Loop: Header=BB1_19 Depth=1
	v_cmp_eq_u16_e64 s[4:5], -1, v28
	v_cmp_ne_u16_e64 s[6:7], -1, v28
	v_mov_b32_e32 v35, 0
	v_mov_b32_e32 v11, 0
	v_mov_b32_e32 v0, 0x4cbebc20
	v_mov_b32_e32 v66, 0
	s_and_saveexec_b64 s[12:13], s[6:7]
	s_cbranch_execz .LBB1_37
; %bb.34:                               ;   in Loop: Header=BB1_19 Depth=1
	v_and_b32_e32 v2, 0xffff, v28
	v_readlane_b32 s8, v127, 0
	v_lshlrev_b32_e32 v0, 3, v2
	v_readlane_b32 s9, v127, 1
	v_mov_b32_e32 v5, s67
	v_mov_b32_e32 v66, 0
	s_nop 2
	global_load_dwordx2 v[0:1], v0, s[8:9]
	s_waitcnt vmcnt(0)
	v_fmac_f32_e32 v0, v30, v1
	v_cvt_i32_f32_e32 v35, v0
	v_mad_u32_u24 v0, v2, s94, v35
	v_ashrrev_i32_e32 v1, 31, v0
	v_lshlrev_b64 v[0:1], 3, v[0:1]
	v_add_co_u32_e32 v4, vcc, s66, v0
	v_addc_co_u32_e32 v5, vcc, v5, v1, vcc
	global_load_dwordx2 v[4:5], v[4:5], off
	v_and_b32_e32 v2, 1, v29
	s_waitcnt vmcnt(0)
	v_fmac_f32_e32 v4, v30, v5
	v_div_scale_f32 v5, s[8:9], v68, v68, v4
	v_rcp_f32_e32 v6, v5
	v_cmp_eq_u32_e64 s[8:9], 1, v2
	v_div_scale_f32 v2, vcc, v4, v68, v4
	v_fma_f32 v7, -v5, v6, 1.0
	v_fmac_f32_e32 v6, v7, v6
	v_mul_f32_e32 v7, v2, v6
	v_fma_f32 v8, -v5, v7, v2
	v_fmac_f32_e32 v7, v8, v6
	v_fma_f32 v2, -v5, v7, v2
	v_div_fmas_f32 v2, v2, v6, v7
	v_div_fixup_f32 v11, v2, v68, v4
	s_and_saveexec_b64 s[14:15], s[8:9]
	s_cbranch_execz .LBB1_36
; %bb.35:                               ;   in Loop: Header=BB1_19 Depth=1
	v_readlane_b32 s8, v127, 2
	v_readlane_b32 s9, v127, 3
	v_mov_b32_e32 v2, s9
	v_add_co_u32_e32 v0, vcc, s8, v0
	v_addc_co_u32_e32 v1, vcc, v2, v1, vcc
	global_load_dwordx2 v[66:67], v[0:1], off
	s_waitcnt vmcnt(0)
	v_fmac_f32_e32 v66, v30, v67
	v_mul_f32_e32 v11, v11, v66
.LBB1_36:                               ;   in Loop: Header=BB1_19 Depth=1
	s_or_b64 exec, exec, s[14:15]
	v_mul_f32_e64 v0, v11, -v3
.LBB1_37:                               ;   in Loop: Header=BB1_19 Depth=1
	s_or_b64 exec, exec, s[12:13]
	v_cmp_ne_u32_e32 vcc, 0, v36
                                        ; implicit-def: $vgpr2
	s_and_saveexec_b64 s[8:9], vcc
	s_xor_b64 s[8:9], exec, s[8:9]
	s_cbranch_execz .LBB1_69
; %bb.38:                               ;   in Loop: Header=BB1_19 Depth=1
	buffer_load_dword v2, off, s[0:3], 0 offset:12 ; 4-byte Folded Reload
	v_add_u32_e32 v1, -1, v36
	s_waitcnt vmcnt(0)
	v_mul_hi_u32 v2, v1, v2
	v_mul_lo_u32 v4, v2, s33
	v_sub_u32_e32 v4, v1, v4
	v_add_u32_e32 v5, 1, v2
	v_cmp_le_u32_e32 vcc, s33, v4
	v_cndmask_b32_e32 v2, v2, v5, vcc
	v_subrev_u32_e32 v5, s33, v4
	v_cndmask_b32_e32 v4, v4, v5, vcc
	v_add_u32_e32 v5, 1, v2
	v_cmp_le_u32_e32 vcc, s33, v4
	v_cndmask_b32_e32 v4, v2, v5, vcc
	buffer_load_dword v5, off, s[0:3], 0 offset:16 ; 4-byte Folded Reload
	v_mul_lo_u32 v2, s33, v4
	v_sub_u32_e32 v2, v1, v2
	s_waitcnt vmcnt(0)
	v_mul_hi_u32 v5, v2, v5
	v_mul_lo_u32 v6, v5, s24
	v_sub_u32_e32 v6, v2, v6
	v_add_u32_e32 v7, 1, v5
	v_cmp_le_u32_e32 vcc, s24, v6
	v_cndmask_b32_e32 v5, v5, v7, vcc
	v_subrev_u32_e32 v7, s24, v6
	v_cndmask_b32_e32 v6, v6, v7, vcc
	v_add_u32_e32 v7, 1, v5
	v_cmp_le_u32_e32 vcc, s24, v6
	v_cndmask_b32_e32 v6, v5, v7, vcc
	v_mul_lo_u32 v5, v6, s24
	v_sub_u32_e32 v8, v2, v5
	v_cmp_nlt_f32_e32 vcc, 0, v32
                                        ; implicit-def: $vgpr2
	s_and_saveexec_b64 s[12:13], vcc
	s_xor_b64 s[12:13], exec, s[12:13]
	s_cbranch_execz .LBB1_44
; %bb.39:                               ;   in Loop: Header=BB1_19 Depth=1
	v_cmp_gt_f32_e32 vcc, 0, v32
	v_mov_b32_e32 v2, v36
	s_and_saveexec_b64 s[14:15], vcc
	s_cbranch_execz .LBB1_43
; %bb.40:                               ;   in Loop: Header=BB1_19 Depth=1
	v_ashrrev_i32_e32 v9, 31, v8
	v_lshlrev_b64 v[12:13], 2, v[8:9]
	v_mov_b32_e32 v2, s37
	v_add_co_u32_e32 v12, vcc, s36, v12
	v_addc_co_u32_e32 v13, vcc, v2, v13, vcc
	global_load_dword v2, v[12:13], off
	s_waitcnt vmcnt(0)
	v_sub_f32_e32 v2, v2, v54
	v_div_scale_f32 v5, s[22:23], v32, v32, v2
	v_rcp_f32_e32 v7, v5
	v_div_scale_f32 v9, vcc, v2, v32, v2
	v_fma_f32 v12, -v5, v7, 1.0
	v_fmac_f32_e32 v7, v12, v7
	v_mul_f32_e32 v12, v9, v7
	v_fma_f32 v13, -v5, v12, v9
	v_fmac_f32_e32 v12, v13, v7
	v_fma_f32 v5, -v5, v12, v9
	v_div_fmas_f32 v5, v5, v7, v12
	v_div_fixup_f32 v5, v5, v32, v2
	v_cmp_le_f32_e32 vcc, v5, v0
	v_mov_b32_e32 v2, v36
	s_and_saveexec_b64 s[22:23], vcc
; %bb.41:                               ;   in Loop: Header=BB1_19 Depth=1
	v_cmp_lt_i32_e32 vcc, 0, v8
	v_cndmask_b32_e32 v2, 0, v1, vcc
	v_mov_b32_e32 v0, v5
; %bb.42:                               ;   in Loop: Header=BB1_19 Depth=1
	s_or_b64 exec, exec, s[22:23]
.LBB1_43:                               ;   in Loop: Header=BB1_19 Depth=1
	s_or_b64 exec, exec, s[14:15]
                                        ; implicit-def: $vgpr8
.LBB1_44:                               ;   in Loop: Header=BB1_19 Depth=1
	s_andn2_saveexec_b64 s[12:13], s[12:13]
	s_cbranch_execz .LBB1_48
; %bb.45:                               ;   in Loop: Header=BB1_19 Depth=1
	v_ashrrev_i32_e32 v9, 31, v8
	v_lshlrev_b64 v[12:13], 2, v[8:9]
	v_readlane_b32 s14, v127, 29
	v_mov_b32_e32 v1, s51
	v_add_co_u32_e32 v12, vcc, s14, v12
	v_addc_co_u32_e32 v13, vcc, v1, v13, vcc
	global_load_dword v1, v[12:13], off
	s_waitcnt vmcnt(0)
	v_sub_f32_e32 v1, v1, v54
	v_div_scale_f32 v2, s[14:15], v32, v32, v1
	v_rcp_f32_e32 v5, v2
	v_div_scale_f32 v7, vcc, v1, v32, v1
	v_fma_f32 v9, -v2, v5, 1.0
	v_fmac_f32_e32 v5, v9, v5
	v_mul_f32_e32 v9, v7, v5
	v_fma_f32 v12, -v2, v9, v7
	v_fmac_f32_e32 v9, v12, v5
	v_fma_f32 v2, -v2, v9, v7
	v_div_fmas_f32 v2, v2, v5, v9
	v_div_fixup_f32 v1, v2, v32, v1
	v_cmp_le_f32_e32 vcc, v1, v0
	v_mov_b32_e32 v2, v36
	s_and_saveexec_b64 s[14:15], vcc
; %bb.46:                               ;   in Loop: Header=BB1_19 Depth=1
	v_add_u32_e32 v0, 1, v8
	v_add_u32_e32 v2, 1, v36
	v_cmp_gt_u32_e32 vcc, s24, v0
	v_cndmask_b32_e32 v2, 0, v2, vcc
	v_mov_b32_e32 v0, v1
; %bb.47:                               ;   in Loop: Header=BB1_19 Depth=1
	s_or_b64 exec, exec, s[14:15]
.LBB1_48:                               ;   in Loop: Header=BB1_19 Depth=1
	s_or_b64 exec, exec, s[12:13]
	v_cmp_nlt_f32_e32 vcc, 0, v33
	s_and_saveexec_b64 s[12:13], vcc
	s_xor_b64 s[12:13], exec, s[12:13]
	s_cbranch_execz .LBB1_54
; %bb.49:                               ;   in Loop: Header=BB1_19 Depth=1
	v_cmp_gt_f32_e32 vcc, 0, v33
	s_and_saveexec_b64 s[14:15], vcc
	s_cbranch_execz .LBB1_53
; %bb.50:                               ;   in Loop: Header=BB1_19 Depth=1
	v_ashrrev_i32_e32 v7, 31, v6
	v_lshlrev_b64 v[8:9], 2, v[6:7]
	v_mov_b32_e32 v1, s39
	v_add_co_u32_e32 v8, vcc, s38, v8
	v_addc_co_u32_e32 v9, vcc, v1, v9, vcc
	global_load_dword v1, v[8:9], off
	s_waitcnt vmcnt(0)
	v_sub_f32_e32 v1, v1, v55
	v_div_scale_f32 v5, s[22:23], v33, v33, v1
	v_rcp_f32_e32 v7, v5
	v_div_scale_f32 v8, vcc, v1, v33, v1
	v_fma_f32 v9, -v5, v7, 1.0
	v_fmac_f32_e32 v7, v9, v7
	v_mul_f32_e32 v9, v8, v7
	v_fma_f32 v12, -v5, v9, v8
	v_fmac_f32_e32 v9, v12, v7
	v_fma_f32 v5, -v5, v9, v8
	v_div_fmas_f32 v5, v5, v7, v9
	v_div_fixup_f32 v1, v5, v33, v1
	v_cmp_le_f32_e32 vcc, v1, v0
	s_and_saveexec_b64 s[22:23], vcc
; %bb.51:                               ;   in Loop: Header=BB1_19 Depth=1
	v_subrev_u32_e32 v0, s24, v36
	v_cmp_lt_i32_e32 vcc, 0, v6
	v_cndmask_b32_e32 v2, 0, v0, vcc
	v_mov_b32_e32 v0, v1
; %bb.52:                               ;   in Loop: Header=BB1_19 Depth=1
	s_or_b64 exec, exec, s[22:23]
.LBB1_53:                               ;   in Loop: Header=BB1_19 Depth=1
	s_or_b64 exec, exec, s[14:15]
                                        ; implicit-def: $vgpr6
.LBB1_54:                               ;   in Loop: Header=BB1_19 Depth=1
	s_andn2_saveexec_b64 s[12:13], s[12:13]
	s_cbranch_execz .LBB1_58
; %bb.55:                               ;   in Loop: Header=BB1_19 Depth=1
	v_ashrrev_i32_e32 v7, 31, v6
	v_lshlrev_b64 v[8:9], 2, v[6:7]
	v_mov_b32_e32 v1, s88
	v_add_co_u32_e32 v8, vcc, s87, v8
	v_addc_co_u32_e32 v9, vcc, v1, v9, vcc
	global_load_dword v1, v[8:9], off
	s_waitcnt vmcnt(0)
	v_sub_f32_e32 v1, v1, v55
	v_div_scale_f32 v5, s[14:15], v33, v33, v1
	v_rcp_f32_e32 v7, v5
	v_div_scale_f32 v8, vcc, v1, v33, v1
	v_fma_f32 v9, -v5, v7, 1.0
	v_fmac_f32_e32 v7, v9, v7
	v_mul_f32_e32 v9, v8, v7
	v_fma_f32 v12, -v5, v9, v8
	v_fmac_f32_e32 v9, v12, v7
	v_fma_f32 v5, -v5, v9, v8
	v_div_fmas_f32 v5, v5, v7, v9
	v_div_fixup_f32 v1, v5, v33, v1
	v_cmp_le_f32_e32 vcc, v1, v0
	s_and_saveexec_b64 s[14:15], vcc
; %bb.56:                               ;   in Loop: Header=BB1_19 Depth=1
	v_add_u32_e32 v0, 1, v6
	v_add_u32_e32 v2, s24, v36
	v_cmp_gt_u32_e32 vcc, s25, v0
	v_cndmask_b32_e32 v2, 0, v2, vcc
	v_mov_b32_e32 v0, v1
; %bb.57:                               ;   in Loop: Header=BB1_19 Depth=1
	s_or_b64 exec, exec, s[14:15]
.LBB1_58:                               ;   in Loop: Header=BB1_19 Depth=1
	s_or_b64 exec, exec, s[12:13]
	v_cmp_nlt_f32_e32 vcc, 0, v34
	s_and_saveexec_b64 s[12:13], vcc
	s_xor_b64 s[12:13], exec, s[12:13]
	s_cbranch_execz .LBB1_64
; %bb.59:                               ;   in Loop: Header=BB1_19 Depth=1
	v_cmp_gt_f32_e32 vcc, 0, v34
	s_and_saveexec_b64 s[14:15], vcc
	s_cbranch_execz .LBB1_63
; %bb.60:                               ;   in Loop: Header=BB1_19 Depth=1
	v_ashrrev_i32_e32 v5, 31, v4
	v_lshlrev_b64 v[6:7], 2, v[4:5]
	v_mov_b32_e32 v1, s71
	v_add_co_u32_e32 v6, vcc, s70, v6
	v_addc_co_u32_e32 v7, vcc, v1, v7, vcc
	global_load_dword v1, v[6:7], off
	s_waitcnt vmcnt(0)
	v_sub_f32_e32 v1, v1, v27
	v_div_scale_f32 v5, s[22:23], v34, v34, v1
	v_rcp_f32_e32 v6, v5
	v_div_scale_f32 v7, vcc, v1, v34, v1
	v_fma_f32 v8, -v5, v6, 1.0
	v_fmac_f32_e32 v6, v8, v6
	v_mul_f32_e32 v8, v7, v6
	v_fma_f32 v9, -v5, v8, v7
	v_fmac_f32_e32 v8, v9, v6
	v_fma_f32 v5, -v5, v8, v7
	v_div_fmas_f32 v5, v5, v6, v8
	v_div_fixup_f32 v1, v5, v34, v1
	v_cmp_le_f32_e32 vcc, v1, v0
	s_and_saveexec_b64 s[22:23], vcc
; %bb.61:                               ;   in Loop: Header=BB1_19 Depth=1
	v_subrev_u32_e32 v0, s33, v36
	v_cmp_lt_i32_e32 vcc, 0, v4
	v_cndmask_b32_e32 v2, 0, v0, vcc
	v_mov_b32_e32 v0, v1
; %bb.62:                               ;   in Loop: Header=BB1_19 Depth=1
	s_or_b64 exec, exec, s[22:23]
.LBB1_63:                               ;   in Loop: Header=BB1_19 Depth=1
	s_or_b64 exec, exec, s[14:15]
                                        ; implicit-def: $vgpr4
.LBB1_64:                               ;   in Loop: Header=BB1_19 Depth=1
	s_andn2_saveexec_b64 s[12:13], s[12:13]
	s_cbranch_execz .LBB1_68
; %bb.65:                               ;   in Loop: Header=BB1_19 Depth=1
	v_ashrrev_i32_e32 v5, 31, v4
	v_lshlrev_b64 v[6:7], 2, v[4:5]
	v_mov_b32_e32 v1, s60
	v_add_co_u32_e32 v6, vcc, s89, v6
	v_addc_co_u32_e32 v7, vcc, v1, v7, vcc
	global_load_dword v1, v[6:7], off
	s_waitcnt vmcnt(0)
	v_sub_f32_e32 v1, v1, v27
	v_div_scale_f32 v5, s[14:15], v34, v34, v1
	v_rcp_f32_e32 v6, v5
	v_div_scale_f32 v7, vcc, v1, v34, v1
	v_fma_f32 v8, -v5, v6, 1.0
	v_fmac_f32_e32 v6, v8, v6
	v_mul_f32_e32 v8, v7, v6
	v_fma_f32 v9, -v5, v8, v7
	v_fmac_f32_e32 v8, v9, v6
	v_fma_f32 v5, -v5, v8, v7
	v_div_fmas_f32 v5, v5, v6, v8
	v_div_fixup_f32 v1, v5, v34, v1
	v_cmp_le_f32_e32 vcc, v1, v0
	s_and_saveexec_b64 s[14:15], vcc
; %bb.66:                               ;   in Loop: Header=BB1_19 Depth=1
	v_add_u32_e32 v0, 1, v4
	v_add_u32_e32 v2, s33, v36
	v_cmp_gt_u32_e32 vcc, s26, v0
	v_cndmask_b32_e32 v2, 0, v2, vcc
	v_mov_b32_e32 v0, v1
; %bb.67:                               ;   in Loop: Header=BB1_19 Depth=1
	s_or_b64 exec, exec, s[14:15]
.LBB1_68:                               ;   in Loop: Header=BB1_19 Depth=1
	s_or_b64 exec, exec, s[12:13]
.LBB1_69:                               ;   in Loop: Header=BB1_19 Depth=1
	s_andn2_saveexec_b64 s[12:13], s[8:9]
	s_cbranch_execz .LBB1_149
; %bb.70:                               ;   in Loop: Header=BB1_19 Depth=1
	global_load_dword v6, v37, s[36:37]
	v_cmp_nlt_f32_e64 s[8:9], 0, v32
                                        ; implicit-def: $vgpr7
                                        ; implicit-def: $vgpr1
	s_waitcnt vmcnt(0)
	v_cmp_nle_f32_e32 vcc, v54, v6
	s_or_b64 s[8:9], vcc, s[8:9]
	s_and_saveexec_b64 s[14:15], s[8:9]
	s_xor_b64 s[14:15], exec, s[14:15]
	s_cbranch_execz .LBB1_74
; %bb.71:                               ;   in Loop: Header=BB1_19 Depth=1
	global_load_dword v2, v37, s[72:73]
	v_cmp_gt_f32_e32 vcc, 0, v32
	v_mov_b32_e32 v7, -1
                                        ; implicit-def: $vgpr1
	s_waitcnt vmcnt(0)
	v_cmp_ge_f32_e64 s[8:9], v54, v2
	s_and_b64 s[22:23], s[8:9], vcc
	s_and_saveexec_b64 s[8:9], s[22:23]
	s_cbranch_execz .LBB1_73
; %bb.72:                               ;   in Loop: Header=BB1_19 Depth=1
	v_sub_f32_e32 v1, v2, v54
	v_div_scale_f32 v2, s[22:23], v32, v32, v1
	v_rcp_f32_e32 v4, v2
	v_div_scale_f32 v5, vcc, v1, v32, v1
	v_readlane_b32 s22, v127, 4
	v_fma_f32 v7, -v2, v4, 1.0
	v_fmac_f32_e32 v4, v7, v4
	v_mul_f32_e32 v7, v5, v4
	v_fma_f32 v8, -v2, v7, v5
	v_fmac_f32_e32 v7, v8, v4
	v_fma_f32 v2, -v2, v7, v5
	v_div_fmas_f32 v2, v2, v4, v7
	v_div_fixup_f32 v1, v2, v32, v1
	v_mov_b32_e32 v7, s22
.LBB1_73:                               ;   in Loop: Header=BB1_19 Depth=1
	s_or_b64 exec, exec, s[8:9]
.LBB1_74:                               ;   in Loop: Header=BB1_19 Depth=1
	s_andn2_saveexec_b64 s[8:9], s[14:15]
	s_cbranch_execz .LBB1_76
; %bb.75:                               ;   in Loop: Header=BB1_19 Depth=1
	v_sub_f32_e32 v1, v6, v54
	v_div_scale_f32 v2, s[14:15], v32, v32, v1
	v_rcp_f32_e32 v4, v2
	v_div_scale_f32 v5, vcc, v1, v32, v1
	v_fma_f32 v7, -v2, v4, 1.0
	v_fmac_f32_e32 v4, v7, v4
	v_mul_f32_e32 v7, v5, v4
	v_fma_f32 v8, -v2, v7, v5
	v_fmac_f32_e32 v7, v8, v4
	v_fma_f32 v2, -v2, v7, v5
	v_div_fmas_f32 v2, v2, v4, v7
	v_div_fixup_f32 v1, v2, v32, v1
	v_mov_b32_e32 v7, 0
.LBB1_76:                               ;   in Loop: Header=BB1_19 Depth=1
	s_or_b64 exec, exec, s[8:9]
	global_load_dword v5, v37, s[38:39]
	v_cmp_lt_i32_e32 vcc, -1, v7
	v_cmp_le_f32_e64 s[8:9], v1, v0
	s_and_b64 s[8:9], vcc, s[8:9]
	s_mov_b64 s[22:23], 0
                                        ; implicit-def: $vgpr2
	s_and_saveexec_b64 s[14:15], s[8:9]
	s_xor_b64 s[8:9], exec, s[14:15]
	s_cbranch_execz .LBB1_95
; %bb.77:                               ;   in Loop: Header=BB1_19 Depth=1
	v_fma_f32 v2, v33, v1, v55
	s_waitcnt vmcnt(0)
	v_cmp_ngt_f32_e32 vcc, v5, v2
	v_mov_b32_e32 v4, -1
	s_and_saveexec_b64 s[14:15], vcc
	s_cbranch_execz .LBB1_83
; %bb.78:                               ;   in Loop: Header=BB1_19 Depth=1
	global_load_dword v4, v37, s[74:75]
	v_readlane_b32 s22, v127, 13
	v_mov_b32_e32 v8, s22
	v_readlane_b32 s22, v127, 7
	v_readlane_b32 s23, v127, 8
	s_waitcnt vmcnt(0)
	v_cmp_lt_f32_e32 vcc, v4, v2
	s_or_b64 s[22:23], vcc, s[22:23]
	s_xor_b64 s[30:31], s[22:23], -1
	v_readlane_b32 s22, v127, 5
	v_readlane_b32 s23, v127, 6
	v_cndmask_b32_e64 v4, 0, -1, vcc
	s_or_b64 vcc, vcc, s[22:23]
	v_cndmask_b32_e32 v4, v8, v4, vcc
	s_and_saveexec_b64 s[22:23], s[30:31]
	s_cbranch_execz .LBB1_82
; %bb.79:                               ;   in Loop: Header=BB1_19 Depth=1
	s_mov_b64 s[30:31], 0
	v_mov_b32_e32 v4, s25
	v_mov_b32_e32 v8, 0
.LBB1_80:                               ;   Parent Loop BB1_19 Depth=1
                                        ; =>  This Inner Loop Header: Depth=2
	v_add_u32_e32 v9, v8, v4
	v_lshrrev_b32_e32 v12, 31, v9
	v_add_u32_e32 v9, v9, v12
	v_ashrrev_i32_e32 v12, 1, v9
	v_ashrrev_i32_e32 v13, 31, v12
	v_lshlrev_b64 v[14:15], 2, v[12:13]
	v_mov_b32_e32 v16, s39
	v_add_co_u32_e32 v14, vcc, s38, v14
	v_addc_co_u32_e32 v15, vcc, v16, v15, vcc
	global_load_dword v9, v[14:15], off
	s_waitcnt vmcnt(0)
	v_cmp_nge_f32_e32 vcc, v9, v2
	v_cndmask_b32_e32 v8, v8, v12, vcc
	v_cndmask_b32_e32 v4, v12, v4, vcc
	v_sub_u32_e32 v9, v4, v8
	v_cmp_gt_i32_e32 vcc, 2, v9
	s_or_b64 s[30:31], vcc, s[30:31]
	s_andn2_b64 exec, exec, s[30:31]
	s_cbranch_execnz .LBB1_80
; %bb.81:                               ;   in Loop: Header=BB1_19 Depth=1
	s_or_b64 exec, exec, s[30:31]
	v_add_u32_e32 v4, -1, v4
.LBB1_82:                               ;   in Loop: Header=BB1_19 Depth=1
	s_or_b64 exec, exec, s[22:23]
.LBB1_83:                               ;   in Loop: Header=BB1_19 Depth=1
	s_or_b64 exec, exec, s[14:15]
	v_cmp_lt_i32_e32 vcc, -1, v4
	s_mov_b64 s[22:23], -1
                                        ; implicit-def: $vgpr2
	s_and_saveexec_b64 s[14:15], vcc
	s_cbranch_execz .LBB1_93
; %bb.84:                               ;   in Loop: Header=BB1_19 Depth=1
	global_load_dword v8, v37, s[70:71]
	v_fma_f32 v2, v34, v1, v27
	s_waitcnt vmcnt(0)
	v_cmp_ngt_f32_e32 vcc, v8, v2
	v_mov_b32_e32 v8, -1
	s_and_saveexec_b64 s[22:23], vcc
	s_cbranch_execz .LBB1_90
; %bb.85:                               ;   in Loop: Header=BB1_19 Depth=1
	global_load_dword v8, v37, s[80:81]
	v_readlane_b32 s30, v127, 18
	v_mov_b32_e32 v9, s30
	v_readlane_b32 s30, v127, 11
	v_readlane_b32 s31, v127, 12
	s_waitcnt vmcnt(0)
	v_cmp_lt_f32_e32 vcc, v8, v2
	s_or_b64 s[30:31], vcc, s[30:31]
	s_xor_b64 s[54:55], s[30:31], -1
	v_readlane_b32 s30, v127, 9
	v_readlane_b32 s31, v127, 10
	v_cndmask_b32_e64 v8, 0, -1, vcc
	s_or_b64 vcc, vcc, s[30:31]
	v_cndmask_b32_e32 v8, v9, v8, vcc
	s_and_saveexec_b64 s[30:31], s[54:55]
	s_cbranch_execz .LBB1_89
; %bb.86:                               ;   in Loop: Header=BB1_19 Depth=1
	s_mov_b64 s[54:55], 0
	v_mov_b32_e32 v8, s26
	v_mov_b32_e32 v9, 0
.LBB1_87:                               ;   Parent Loop BB1_19 Depth=1
                                        ; =>  This Inner Loop Header: Depth=2
	v_add_u32_e32 v12, v9, v8
	v_lshrrev_b32_e32 v13, 31, v12
	v_add_u32_e32 v12, v12, v13
	v_ashrrev_i32_e32 v12, 1, v12
	v_ashrrev_i32_e32 v13, 31, v12
	v_lshlrev_b64 v[14:15], 2, v[12:13]
	v_mov_b32_e32 v16, s71
	v_add_co_u32_e32 v14, vcc, s70, v14
	v_addc_co_u32_e32 v15, vcc, v16, v15, vcc
	global_load_dword v13, v[14:15], off
	s_waitcnt vmcnt(0)
	v_cmp_nge_f32_e32 vcc, v13, v2
	v_cndmask_b32_e32 v9, v9, v12, vcc
	v_cndmask_b32_e32 v8, v12, v8, vcc
	v_sub_u32_e32 v12, v8, v9
	v_cmp_gt_i32_e32 vcc, 2, v12
	s_or_b64 s[54:55], vcc, s[54:55]
	s_andn2_b64 exec, exec, s[54:55]
	s_cbranch_execnz .LBB1_87
; %bb.88:                               ;   in Loop: Header=BB1_19 Depth=1
	s_or_b64 exec, exec, s[54:55]
	v_add_u32_e32 v8, -1, v8
.LBB1_89:                               ;   in Loop: Header=BB1_19 Depth=1
	s_or_b64 exec, exec, s[30:31]
.LBB1_90:                               ;   in Loop: Header=BB1_19 Depth=1
	s_or_b64 exec, exec, s[22:23]
	v_cmp_lt_i32_e32 vcc, -1, v8
	s_mov_b64 s[22:23], -1
                                        ; implicit-def: $vgpr2
	s_and_saveexec_b64 s[30:31], vcc
; %bb.91:                               ;   in Loop: Header=BB1_19 Depth=1
	v_mad_u64_u32 v[8:9], s[22:23], v8, s25, v[4:5]
	v_mul_lo_u32 v0, s24, v8
	v_add3_u32 v2, v7, v0, 1
	s_xor_b64 s[22:23], exec, -1
	v_mov_b32_e32 v0, v1
; %bb.92:                               ;   in Loop: Header=BB1_19 Depth=1
	s_or_b64 exec, exec, s[30:31]
	s_orn2_b64 s[22:23], s[22:23], exec
.LBB1_93:                               ;   in Loop: Header=BB1_19 Depth=1
	s_or_b64 exec, exec, s[14:15]
	s_and_b64 s[22:23], s[22:23], exec
	s_or_saveexec_b64 s[8:9], s[8:9]
	v_mov_b32_e32 v7, v55
	s_xor_b64 exec, exec, s[8:9]
	s_cbranch_execnz .LBB1_96
.LBB1_94:                               ;   in Loop: Header=BB1_19 Depth=1
	s_or_b64 exec, exec, s[8:9]
	s_and_saveexec_b64 s[14:15], s[22:23]
	s_cbranch_execnz .LBB1_97
	s_branch .LBB1_148
.LBB1_95:                               ;   in Loop: Header=BB1_19 Depth=1
	s_or_saveexec_b64 s[8:9], s[8:9]
	v_mov_b32_e32 v7, v55
	s_xor_b64 exec, exec, s[8:9]
	s_cbranch_execz .LBB1_94
.LBB1_96:                               ;   in Loop: Header=BB1_19 Depth=1
	s_or_b64 s[22:23], s[22:23], exec
	v_mov_b32_e32 v7, v55
                                        ; implicit-def: $vgpr2
	s_or_b64 exec, exec, s[8:9]
	s_and_saveexec_b64 s[14:15], s[22:23]
	s_cbranch_execz .LBB1_148
.LBB1_97:                               ;   in Loop: Header=BB1_19 Depth=1
	s_waitcnt vmcnt(0)
	v_cmp_nle_f32_e32 vcc, v7, v5
	v_cmp_nlt_f32_e64 s[8:9], 0, v33
	s_or_b64 s[8:9], vcc, s[8:9]
                                        ; implicit-def: $vgpr4
	s_and_saveexec_b64 s[22:23], s[8:9]
	s_xor_b64 s[22:23], exec, s[22:23]
	s_cbranch_execz .LBB1_101
; %bb.98:                               ;   in Loop: Header=BB1_19 Depth=1
	global_load_dword v8, v37, s[74:75]
	v_cmp_gt_f32_e32 vcc, 0, v33
	v_mov_b32_e32 v4, -1
	s_waitcnt vmcnt(0)
	v_cmp_ge_f32_e64 s[8:9], v7, v8
	s_and_b64 s[30:31], s[8:9], vcc
	s_and_saveexec_b64 s[8:9], s[30:31]
	s_cbranch_execz .LBB1_100
; %bb.99:                               ;   in Loop: Header=BB1_19 Depth=1
	v_sub_f32_e32 v1, v8, v7
	v_div_scale_f32 v4, s[30:31], v33, v33, v1
	v_rcp_f32_e32 v8, v4
	v_div_scale_f32 v9, vcc, v1, v33, v1
	v_readlane_b32 s30, v127, 13
	v_fma_f32 v12, -v4, v8, 1.0
	v_fmac_f32_e32 v8, v12, v8
	v_mul_f32_e32 v12, v9, v8
	v_fma_f32 v13, -v4, v12, v9
	v_fmac_f32_e32 v12, v13, v8
	v_fma_f32 v4, -v4, v12, v9
	v_div_fmas_f32 v4, v4, v8, v12
	v_div_fixup_f32 v1, v4, v33, v1
	v_mov_b32_e32 v4, s30
.LBB1_100:                              ;   in Loop: Header=BB1_19 Depth=1
	s_or_b64 exec, exec, s[8:9]
.LBB1_101:                              ;   in Loop: Header=BB1_19 Depth=1
	s_andn2_saveexec_b64 s[8:9], s[22:23]
	s_cbranch_execz .LBB1_103
; %bb.102:                              ;   in Loop: Header=BB1_19 Depth=1
	v_sub_f32_e32 v1, v5, v7
	v_div_scale_f32 v4, s[22:23], v33, v33, v1
	v_rcp_f32_e32 v8, v4
	v_div_scale_f32 v9, vcc, v1, v33, v1
	v_fma_f32 v12, -v4, v8, 1.0
	v_fmac_f32_e32 v8, v12, v8
	v_mul_f32_e32 v12, v9, v8
	v_fma_f32 v13, -v4, v12, v9
	v_fmac_f32_e32 v12, v13, v8
	v_fma_f32 v4, -v4, v12, v9
	v_div_fmas_f32 v4, v4, v8, v12
	v_div_fixup_f32 v1, v4, v33, v1
	v_mov_b32_e32 v4, 0
.LBB1_103:                              ;   in Loop: Header=BB1_19 Depth=1
	s_or_b64 exec, exec, s[8:9]
	v_cmp_lt_i32_e32 vcc, -1, v4
	v_cmp_le_f32_e64 s[8:9], v1, v0
	s_and_b64 s[22:23], vcc, s[8:9]
	s_mov_b64 s[30:31], -1
	s_and_saveexec_b64 s[8:9], s[22:23]
	s_cbranch_execz .LBB1_121
; %bb.104:                              ;   in Loop: Header=BB1_19 Depth=1
	v_fma_f32 v9, v32, v1, v54
	v_cmp_ngt_f32_e32 vcc, v6, v9
	v_mov_b32_e32 v8, -1
	s_and_saveexec_b64 s[22:23], vcc
	s_cbranch_execz .LBB1_110
; %bb.105:                              ;   in Loop: Header=BB1_19 Depth=1
	global_load_dword v8, v37, s[72:73]
	v_readlane_b32 s30, v127, 4
	v_mov_b32_e32 v12, s30
	v_readlane_b32 s30, v127, 16
	v_readlane_b32 s31, v127, 17
	s_waitcnt vmcnt(0)
	v_cmp_lt_f32_e32 vcc, v8, v9
	s_or_b64 s[30:31], vcc, s[30:31]
	s_xor_b64 s[54:55], s[30:31], -1
	v_readlane_b32 s30, v127, 14
	v_readlane_b32 s31, v127, 15
	v_cndmask_b32_e64 v8, 0, -1, vcc
	s_or_b64 vcc, vcc, s[30:31]
	v_cndmask_b32_e32 v8, v12, v8, vcc
	s_and_saveexec_b64 s[30:31], s[54:55]
	s_cbranch_execz .LBB1_109
; %bb.106:                              ;   in Loop: Header=BB1_19 Depth=1
	s_mov_b64 s[54:55], 0
	v_mov_b32_e32 v8, s24
	v_mov_b32_e32 v12, 0
.LBB1_107:                              ;   Parent Loop BB1_19 Depth=1
                                        ; =>  This Inner Loop Header: Depth=2
	v_add_u32_e32 v13, v12, v8
	v_lshrrev_b32_e32 v14, 31, v13
	v_add_u32_e32 v13, v13, v14
	v_ashrrev_i32_e32 v14, 1, v13
	v_ashrrev_i32_e32 v15, 31, v14
	v_lshlrev_b64 v[16:17], 2, v[14:15]
	v_mov_b32_e32 v18, s37
	v_add_co_u32_e32 v16, vcc, s36, v16
	v_addc_co_u32_e32 v17, vcc, v18, v17, vcc
	global_load_dword v13, v[16:17], off
	s_waitcnt vmcnt(0)
	v_cmp_nge_f32_e32 vcc, v13, v9
	v_cndmask_b32_e32 v12, v12, v14, vcc
	v_cndmask_b32_e32 v8, v14, v8, vcc
	v_sub_u32_e32 v13, v8, v12
	v_cmp_gt_i32_e32 vcc, 2, v13
	s_or_b64 s[54:55], vcc, s[54:55]
	s_andn2_b64 exec, exec, s[54:55]
	s_cbranch_execnz .LBB1_107
; %bb.108:                              ;   in Loop: Header=BB1_19 Depth=1
	s_or_b64 exec, exec, s[54:55]
	v_add_u32_e32 v8, -1, v8
.LBB1_109:                              ;   in Loop: Header=BB1_19 Depth=1
	s_or_b64 exec, exec, s[30:31]
.LBB1_110:                              ;   in Loop: Header=BB1_19 Depth=1
	s_or_b64 exec, exec, s[22:23]
	v_cmp_lt_i32_e32 vcc, -1, v8
	s_mov_b64 s[30:31], -1
	s_and_saveexec_b64 s[22:23], vcc
	s_cbranch_execz .LBB1_120
; %bb.111:                              ;   in Loop: Header=BB1_19 Depth=1
	global_load_dword v12, v37, s[70:71]
	v_fma_f32 v9, v34, v1, v27
	s_waitcnt vmcnt(0)
	v_cmp_ngt_f32_e32 vcc, v12, v9
	v_mov_b32_e32 v12, -1
	s_and_saveexec_b64 s[30:31], vcc
	s_cbranch_execz .LBB1_117
; %bb.112:                              ;   in Loop: Header=BB1_19 Depth=1
	global_load_dword v12, v37, s[80:81]
	v_readlane_b32 s54, v127, 18
	v_mov_b32_e32 v13, s54
	v_readlane_b32 s54, v127, 11
	v_readlane_b32 s55, v127, 12
	s_waitcnt vmcnt(0)
	v_cmp_lt_f32_e32 vcc, v12, v9
	s_or_b64 s[54:55], vcc, s[54:55]
	s_xor_b64 s[82:83], s[54:55], -1
	v_readlane_b32 s54, v127, 9
	v_readlane_b32 s55, v127, 10
	v_cndmask_b32_e64 v12, 0, -1, vcc
	s_or_b64 vcc, vcc, s[54:55]
	v_cndmask_b32_e32 v12, v13, v12, vcc
	s_and_saveexec_b64 s[54:55], s[82:83]
	s_cbranch_execz .LBB1_116
; %bb.113:                              ;   in Loop: Header=BB1_19 Depth=1
	s_mov_b64 s[82:83], 0
	v_mov_b32_e32 v12, s26
	v_mov_b32_e32 v13, 0
.LBB1_114:                              ;   Parent Loop BB1_19 Depth=1
                                        ; =>  This Inner Loop Header: Depth=2
	v_add_u32_e32 v14, v13, v12
	v_lshrrev_b32_e32 v15, 31, v14
	v_add_u32_e32 v14, v14, v15
	v_ashrrev_i32_e32 v14, 1, v14
	v_ashrrev_i32_e32 v15, 31, v14
	v_lshlrev_b64 v[16:17], 2, v[14:15]
	v_mov_b32_e32 v18, s71
	v_add_co_u32_e32 v16, vcc, s70, v16
	v_addc_co_u32_e32 v17, vcc, v18, v17, vcc
	global_load_dword v15, v[16:17], off
	s_waitcnt vmcnt(0)
	v_cmp_nge_f32_e32 vcc, v15, v9
	v_cndmask_b32_e32 v13, v13, v14, vcc
	v_cndmask_b32_e32 v12, v14, v12, vcc
	v_sub_u32_e32 v14, v12, v13
	v_cmp_gt_i32_e32 vcc, 2, v14
	s_or_b64 s[82:83], vcc, s[82:83]
	s_andn2_b64 exec, exec, s[82:83]
	s_cbranch_execnz .LBB1_114
; %bb.115:                              ;   in Loop: Header=BB1_19 Depth=1
	s_or_b64 exec, exec, s[82:83]
	v_add_u32_e32 v12, -1, v12
.LBB1_116:                              ;   in Loop: Header=BB1_19 Depth=1
	s_or_b64 exec, exec, s[54:55]
.LBB1_117:                              ;   in Loop: Header=BB1_19 Depth=1
	s_or_b64 exec, exec, s[30:31]
	v_cmp_lt_i32_e32 vcc, -1, v12
	s_mov_b64 s[30:31], -1
	s_and_saveexec_b64 s[54:55], vcc
; %bb.118:                              ;   in Loop: Header=BB1_19 Depth=1
	v_mad_u64_u32 v[12:13], s[30:31], s25, v12, v[4:5]
	v_mul_lo_u32 v0, v12, s24
	v_add3_u32 v2, v8, v0, 1
	s_xor_b64 s[30:31], exec, -1
	v_mov_b32_e32 v0, v1
; %bb.119:                              ;   in Loop: Header=BB1_19 Depth=1
	s_or_b64 exec, exec, s[54:55]
	s_orn2_b64 s[30:31], s[30:31], exec
.LBB1_120:                              ;   in Loop: Header=BB1_19 Depth=1
	s_or_b64 exec, exec, s[22:23]
	s_orn2_b64 s[30:31], s[30:31], exec
.LBB1_121:                              ;   in Loop: Header=BB1_19 Depth=1
	s_or_b64 exec, exec, s[8:9]
	s_and_saveexec_b64 s[22:23], s[30:31]
	s_cbranch_execz .LBB1_147
; %bb.122:                              ;   in Loop: Header=BB1_19 Depth=1
	global_load_dword v2, v37, s[70:71]
	v_cmp_nlt_f32_e64 s[8:9], 0, v34
                                        ; implicit-def: $vgpr8
	s_waitcnt vmcnt(0)
	v_cmp_nle_f32_e32 vcc, v27, v2
	s_or_b64 s[8:9], vcc, s[8:9]
	s_and_saveexec_b64 s[30:31], s[8:9]
	s_xor_b64 s[30:31], exec, s[30:31]
	s_cbranch_execz .LBB1_126
; %bb.123:                              ;   in Loop: Header=BB1_19 Depth=1
	global_load_dword v2, v37, s[80:81]
	v_cmp_gt_f32_e32 vcc, 0, v34
	v_mov_b32_e32 v8, -1
	s_waitcnt vmcnt(0)
	v_cmp_ge_f32_e64 s[8:9], v27, v2
	s_and_b64 s[54:55], s[8:9], vcc
	s_and_saveexec_b64 s[8:9], s[54:55]
	s_cbranch_execz .LBB1_125
; %bb.124:                              ;   in Loop: Header=BB1_19 Depth=1
	v_sub_f32_e32 v1, v2, v27
	v_div_scale_f32 v2, s[54:55], v34, v34, v1
	v_rcp_f32_e32 v4, v2
	v_div_scale_f32 v8, vcc, v1, v34, v1
	v_readlane_b32 s54, v127, 18
	v_fma_f32 v9, -v2, v4, 1.0
	v_fmac_f32_e32 v4, v9, v4
	v_mul_f32_e32 v9, v8, v4
	v_fma_f32 v12, -v2, v9, v8
	v_fmac_f32_e32 v9, v12, v4
	v_fma_f32 v2, -v2, v9, v8
	v_div_fmas_f32 v2, v2, v4, v9
	v_div_fixup_f32 v1, v2, v34, v1
	v_mov_b32_e32 v8, s54
.LBB1_125:                              ;   in Loop: Header=BB1_19 Depth=1
	s_or_b64 exec, exec, s[8:9]
                                        ; implicit-def: $vgpr2
.LBB1_126:                              ;   in Loop: Header=BB1_19 Depth=1
	s_andn2_saveexec_b64 s[8:9], s[30:31]
	s_cbranch_execz .LBB1_128
; %bb.127:                              ;   in Loop: Header=BB1_19 Depth=1
	v_sub_f32_e32 v1, v2, v27
	v_div_scale_f32 v2, s[30:31], v34, v34, v1
	v_rcp_f32_e32 v4, v2
	v_div_scale_f32 v8, vcc, v1, v34, v1
	v_fma_f32 v9, -v2, v4, 1.0
	v_fmac_f32_e32 v4, v9, v4
	v_mul_f32_e32 v9, v8, v4
	v_fma_f32 v12, -v2, v9, v8
	v_fmac_f32_e32 v9, v12, v4
	v_fma_f32 v2, -v2, v9, v8
	v_div_fmas_f32 v2, v2, v4, v9
	v_div_fixup_f32 v1, v2, v34, v1
	v_mov_b32_e32 v8, 0
.LBB1_128:                              ;   in Loop: Header=BB1_19 Depth=1
	s_or_b64 exec, exec, s[8:9]
	v_cmp_lt_i32_e32 vcc, -1, v8
	v_cmp_le_f32_e64 s[8:9], v1, v0
	s_and_b64 s[30:31], vcc, s[8:9]
	v_mov_b32_e32 v2, 0
	s_and_saveexec_b64 s[8:9], s[30:31]
	s_cbranch_execz .LBB1_146
; %bb.129:                              ;   in Loop: Header=BB1_19 Depth=1
	v_fma_f32 v2, v32, v1, v54
	v_cmp_ngt_f32_e32 vcc, v6, v2
	v_mov_b32_e32 v6, -1
	s_and_saveexec_b64 s[30:31], vcc
	s_cbranch_execz .LBB1_135
; %bb.130:                              ;   in Loop: Header=BB1_19 Depth=1
	global_load_dword v4, v37, s[72:73]
	v_readlane_b32 s54, v127, 4
	v_mov_b32_e32 v6, s54
	v_readlane_b32 s54, v127, 16
	v_readlane_b32 s55, v127, 17
	s_waitcnt vmcnt(0)
	v_cmp_lt_f32_e32 vcc, v4, v2
	s_or_b64 s[54:55], vcc, s[54:55]
	s_xor_b64 s[82:83], s[54:55], -1
	v_readlane_b32 s54, v127, 14
	v_readlane_b32 s55, v127, 15
	v_cndmask_b32_e64 v4, 0, -1, vcc
	s_or_b64 vcc, vcc, s[54:55]
	v_cndmask_b32_e32 v6, v6, v4, vcc
	s_and_saveexec_b64 s[54:55], s[82:83]
	s_cbranch_execz .LBB1_134
; %bb.131:                              ;   in Loop: Header=BB1_19 Depth=1
	s_mov_b64 s[82:83], 0
	v_mov_b32_e32 v4, s24
	v_mov_b32_e32 v6, 0
.LBB1_132:                              ;   Parent Loop BB1_19 Depth=1
                                        ; =>  This Inner Loop Header: Depth=2
	v_add_u32_e32 v9, v6, v4
	v_lshrrev_b32_e32 v12, 31, v9
	v_add_u32_e32 v9, v9, v12
	v_ashrrev_i32_e32 v12, 1, v9
	v_ashrrev_i32_e32 v13, 31, v12
	v_lshlrev_b64 v[14:15], 2, v[12:13]
	v_mov_b32_e32 v16, s37
	v_add_co_u32_e32 v14, vcc, s36, v14
	v_addc_co_u32_e32 v15, vcc, v16, v15, vcc
	global_load_dword v9, v[14:15], off
	s_waitcnt vmcnt(0)
	v_cmp_nge_f32_e32 vcc, v9, v2
	v_cndmask_b32_e32 v6, v6, v12, vcc
	v_cndmask_b32_e32 v4, v12, v4, vcc
	v_sub_u32_e32 v9, v4, v6
	v_cmp_gt_i32_e32 vcc, 2, v9
	s_or_b64 s[82:83], vcc, s[82:83]
	s_andn2_b64 exec, exec, s[82:83]
	s_cbranch_execnz .LBB1_132
; %bb.133:                              ;   in Loop: Header=BB1_19 Depth=1
	s_or_b64 exec, exec, s[82:83]
	v_add_u32_e32 v6, -1, v4
.LBB1_134:                              ;   in Loop: Header=BB1_19 Depth=1
	s_or_b64 exec, exec, s[54:55]
.LBB1_135:                              ;   in Loop: Header=BB1_19 Depth=1
	s_or_b64 exec, exec, s[30:31]
	v_cmp_lt_i32_e32 vcc, -1, v6
	v_mov_b32_e32 v2, 0
	s_and_saveexec_b64 s[30:31], vcc
	s_cbranch_execz .LBB1_145
; %bb.136:                              ;   in Loop: Header=BB1_19 Depth=1
	v_fmac_f32_e32 v7, v33, v1
	v_cmp_ngt_f32_e32 vcc, v5, v7
	v_mov_b32_e32 v4, -1
	s_and_saveexec_b64 s[54:55], vcc
	s_cbranch_execz .LBB1_142
; %bb.137:                              ;   in Loop: Header=BB1_19 Depth=1
	global_load_dword v2, v37, s[74:75]
	v_readlane_b32 s82, v127, 13
	v_mov_b32_e32 v4, s82
	v_readlane_b32 s82, v127, 7
	v_readlane_b32 s83, v127, 8
	s_waitcnt vmcnt(0)
	v_cmp_lt_f32_e32 vcc, v2, v7
	s_or_b64 s[82:83], vcc, s[82:83]
	s_xor_b64 s[84:85], s[82:83], -1
	v_readlane_b32 s82, v127, 5
	v_readlane_b32 s83, v127, 6
	v_cndmask_b32_e64 v2, 0, -1, vcc
	s_or_b64 vcc, vcc, s[82:83]
	v_cndmask_b32_e32 v4, v4, v2, vcc
	s_and_saveexec_b64 s[82:83], s[84:85]
	s_cbranch_execz .LBB1_141
; %bb.138:                              ;   in Loop: Header=BB1_19 Depth=1
	s_mov_b64 s[84:85], 0
	v_mov_b32_e32 v2, s25
	v_mov_b32_e32 v4, 0
.LBB1_139:                              ;   Parent Loop BB1_19 Depth=1
                                        ; =>  This Inner Loop Header: Depth=2
	v_add_u32_e32 v5, v4, v2
	v_lshrrev_b32_e32 v12, 31, v5
	v_add_u32_e32 v5, v5, v12
	v_ashrrev_i32_e32 v12, 1, v5
	v_ashrrev_i32_e32 v13, 31, v12
	v_lshlrev_b64 v[14:15], 2, v[12:13]
	v_mov_b32_e32 v9, s39
	v_add_co_u32_e32 v14, vcc, s38, v14
	v_addc_co_u32_e32 v15, vcc, v9, v15, vcc
	global_load_dword v5, v[14:15], off
	s_waitcnt vmcnt(0)
	v_cmp_nge_f32_e32 vcc, v5, v7
	v_cndmask_b32_e32 v4, v4, v12, vcc
	v_cndmask_b32_e32 v2, v12, v2, vcc
	v_sub_u32_e32 v5, v2, v4
	v_cmp_gt_i32_e32 vcc, 2, v5
	s_or_b64 s[84:85], vcc, s[84:85]
	s_andn2_b64 exec, exec, s[84:85]
	s_cbranch_execnz .LBB1_139
; %bb.140:                              ;   in Loop: Header=BB1_19 Depth=1
	s_or_b64 exec, exec, s[84:85]
	v_add_u32_e32 v4, -1, v2
.LBB1_141:                              ;   in Loop: Header=BB1_19 Depth=1
	s_or_b64 exec, exec, s[82:83]
.LBB1_142:                              ;   in Loop: Header=BB1_19 Depth=1
	s_or_b64 exec, exec, s[54:55]
	v_cmp_lt_i32_e32 vcc, -1, v4
	v_mov_b32_e32 v2, 0
	s_and_saveexec_b64 s[54:55], vcc
; %bb.143:                              ;   in Loop: Header=BB1_19 Depth=1
	v_mad_u64_u32 v[4:5], s[82:83], s25, v8, v[4:5]
	v_mul_lo_u32 v0, v4, s24
	v_add3_u32 v2, v6, v0, 1
	v_mov_b32_e32 v0, v1
; %bb.144:                              ;   in Loop: Header=BB1_19 Depth=1
	s_or_b64 exec, exec, s[54:55]
.LBB1_145:                              ;   in Loop: Header=BB1_19 Depth=1
	s_or_b64 exec, exec, s[30:31]
.LBB1_146:                              ;   in Loop: Header=BB1_19 Depth=1
	s_or_b64 exec, exec, s[8:9]
.LBB1_147:                              ;   in Loop: Header=BB1_19 Depth=1
	s_or_b64 exec, exec, s[22:23]
.LBB1_148:                              ;   in Loop: Header=BB1_19 Depth=1
	s_or_b64 exec, exec, s[14:15]
.LBB1_149:                              ;   in Loop: Header=BB1_19 Depth=1
	s_or_b64 exec, exec, s[12:13]
	v_cmp_eq_u32_e64 s[8:9], 0, v2
	s_and_b64 s[12:13], s[4:5], s[8:9]
	s_xor_b64 s[14:15], s[12:13], -1
	v_mov_b32_e32 v67, -1
	v_mov_b32_e32 v25, 1
	v_mov_b32_e32 v1, 0
	s_and_saveexec_b64 s[12:13], s[14:15]
	s_cbranch_execz .LBB1_157
; %bb.150:                              ;   in Loop: Header=BB1_19 Depth=1
	s_and_saveexec_b64 s[14:15], s[6:7]
	s_cbranch_execz .LBB1_152
; %bb.151:                              ;   in Loop: Header=BB1_19 Depth=1
	v_div_scale_f32 v1, s[6:7], v11, v11, v0
	v_rcp_f32_e32 v4, v1
	s_waitcnt vmcnt(0)
	v_div_scale_f32 v5, vcc, v0, v11, v0
	v_fma_f32 v6, -v1, v4, 1.0
	v_fmac_f32_e32 v4, v6, v4
	v_mul_f32_e32 v6, v5, v4
	v_fma_f32 v7, -v1, v6, v5
	v_fmac_f32_e32 v6, v7, v4
	v_fma_f32 v1, -v1, v6, v5
	v_div_fmas_f32 v1, v1, v4, v6
	v_div_fixup_f32 v1, v1, v11, v0
	v_sub_f32_e64 v1, -v3, v1
	v_max_f32_e32 v10, 0, v1
.LBB1_152:                              ;   in Loop: Header=BB1_19 Depth=1
	s_or_b64 exec, exec, s[14:15]
	v_cmp_ne_u32_e32 vcc, v2, v36
	v_mov_b32_e32 v67, v28
	s_and_saveexec_b64 s[6:7], vcc
	s_cbranch_execz .LBB1_154
; %bb.153:                              ;   in Loop: Header=BB1_19 Depth=1
	v_mov_b32_e32 v3, v37
	s_waitcnt vmcnt(0)
	v_lshlrev_b64 v[4:5], 4, v[2:3]
	v_mov_b32_e32 v1, s63
	v_add_co_u32_e32 v4, vcc, s62, v4
	v_addc_co_u32_e32 v5, vcc, v1, v5, vcc
	global_load_dword v67, v[4:5], off
	global_load_dword v69, v[4:5], off offset:8
	v_mov_b32_e32 v36, v2
	s_waitcnt vmcnt(1)
	v_lshrrev_b32_e32 v29, 16, v67
.LBB1_154:                              ;   in Loop: Header=BB1_19 Depth=1
	s_or_b64 exec, exec, s[6:7]
	s_waitcnt vmcnt(0)
	v_cmp_nle_f32_e32 vcc, v48, v69
	v_mov_b32_e32 v25, 0
	s_and_saveexec_b64 s[6:7], vcc
; %bb.155:                              ;   in Loop: Header=BB1_19 Depth=1
	s_xor_b64 s[4:5], s[4:5], -1
	s_and_b64 s[4:5], s[8:9], s[4:5]
	v_cndmask_b32_e64 v25, 2, 1, s[4:5]
; %bb.156:                              ;   in Loop: Header=BB1_19 Depth=1
	s_or_b64 exec, exec, s[6:7]
	v_pk_fma_f32 v[54:55], v[32:33], v[0:1], v[54:55] op_sel_hi:[1,0,1]
	v_fmac_f32_e32 v27, v34, v0
	v_mov_b32_e32 v1, v36
.LBB1_157:                              ;   in Loop: Header=BB1_19 Depth=1
	s_or_b64 exec, exec, s[12:13]
	v_mov_b32_e32 v36, v1
.LBB1_158:                              ;   in Loop: Header=BB1_19 Depth=1
	s_or_b64 exec, exec, s[10:11]
	v_cmp_eq_u16_sdwa s[4:5], v25, v80 src0_sel:BYTE_0 src1_sel:DWORD
	s_and_b64 s[4:5], s[20:21], s[4:5]
	s_mov_b64 s[22:23], 0
	s_and_saveexec_b64 s[6:7], s[4:5]
; %bb.159:                              ;   in Loop: Header=BB1_19 Depth=1
	v_cmp_eq_u16_e32 vcc, v67, v28
	v_cmp_ne_u16_e64 s[4:5], -1, v67
	s_and_b64 s[4:5], vcc, s[4:5]
	v_cmp_nle_f32_e32 vcc, s95, v10
	s_and_b64 s[4:5], vcc, s[4:5]
	v_mov_b32_e32 v25, 2
	s_and_b64 s[22:23], s[4:5], exec
; %bb.160:                              ;   in Loop: Header=BB1_19 Depth=1
	s_or_b64 exec, exec, s[6:7]
	flat_load_ubyte v0, v[52:53] glc
	s_waitcnt vmcnt(0) lgkmcnt(0)
	v_cmp_lt_u32_e32 vcc, 1, v0
	v_add_u32_e32 v0, 1, v0
	s_and_saveexec_b64 s[54:55], vcc
	s_cbranch_execz .LBB1_162
; %bb.161:                              ;   in Loop: Header=BB1_19 Depth=1
	s_add_u32 s8, s16, 8
	s_addc_u32 s9, s17, 0
	s_getpc_b64 s[4:5]
	s_add_u32 s4, s4, _Z17MT_generate_arrayv@rel32@lo+4
	s_addc_u32 s5, s5, _Z17MT_generate_arrayv@rel32@hi+12
	s_swappc_b64 s[30:31], s[4:5]
	v_mov_b32_e32 v0, 0
.LBB1_162:                              ;   in Loop: Header=BB1_19 Depth=1
	s_or_b64 exec, exec, s[54:55]
	s_and_saveexec_b64 s[4:5], s[18:19]
	s_cbranch_execz .LBB1_164
; %bb.163:                              ;   in Loop: Header=BB1_19 Depth=1
	flat_store_byte v[52:53], v0
	s_waitcnt vmcnt(0)
.LBB1_164:                              ;   in Loop: Header=BB1_19 Depth=1
	s_or_b64 exec, exec, s[4:5]
	v_lshl_or_b32 v0, v0, 7, v79
	v_mad_u32_u24 v0, v78, s78, v0
	ds_read_b32 v28, v0 offset:6464
	flat_load_ubyte v0, v[52:53] glc
	s_waitcnt vmcnt(0) lgkmcnt(0)
	v_cmp_lt_u32_e32 vcc, 1, v0
	v_add_u32_e32 v2, 1, v0
	s_and_saveexec_b64 s[54:55], vcc
	s_cbranch_execz .LBB1_166
; %bb.165:                              ;   in Loop: Header=BB1_19 Depth=1
	s_add_u32 s8, s16, 8
	s_addc_u32 s9, s17, 0
	s_getpc_b64 s[4:5]
	s_add_u32 s4, s4, _Z17MT_generate_arrayv@rel32@lo+4
	s_addc_u32 s5, s5, _Z17MT_generate_arrayv@rel32@hi+12
	s_swappc_b64 s[30:31], s[4:5]
	v_mov_b32_e32 v2, 0
.LBB1_166:                              ;   in Loop: Header=BB1_19 Depth=1
	s_or_b64 exec, exec, s[54:55]
	s_and_saveexec_b64 s[4:5], s[18:19]
	s_cbranch_execz .LBB1_168
; %bb.167:                              ;   in Loop: Header=BB1_19 Depth=1
	flat_store_byte v[52:53], v2
	s_waitcnt vmcnt(0)
.LBB1_168:                              ;   in Loop: Header=BB1_19 Depth=1
	s_or_b64 exec, exec, s[4:5]
	v_and_b32_e32 v0, 1, v29
	v_cmp_eq_u32_e32 vcc, 1, v0
	v_sub_f32_e32 v0, 1.0, v66
	s_and_b64 s[4:5], s[22:23], vcc
	v_cmp_lt_f32_e32 vcc, v28, v0
	s_and_b64 s[4:5], s[4:5], vcc
	v_cndmask_b32_e64 v25, v25, 3, s[4:5]
	s_xor_b64 s[4:5], s[4:5], -1
	s_and_b64 s[4:5], s[4:5], s[22:23]
	s_and_saveexec_b64 s[6:7], s[4:5]
	s_cbranch_execz .LBB1_172
; %bb.169:                              ;   in Loop: Header=BB1_19 Depth=1
	v_and_b32_e32 v0, 0xffff, v67
	v_mad_u32_u24 v0, v0, s94, v35
	v_ashrrev_i32_e32 v1, 31, v0
	v_lshlrev_b64 v[0:1], 3, v[0:1]
	v_mov_b32_e32 v3, s91
	v_add_co_u32_e32 v4, vcc, s90, v0
	v_addc_co_u32_e32 v5, vcc, v3, v1, vcc
	global_load_dwordx2 v[4:5], v[4:5], off
	v_lshl_or_b32 v2, v2, 7, v79
	v_mad_u32_u24 v2, v78, s78, v2
	ds_read_b32 v2, v2 offset:6464
	v_cmp_nlt_f32_e32 vcc, s27, v48
	v_mov_b32_e32 v25, 6
	s_waitcnt vmcnt(0)
	v_fmac_f32_e32 v4, v30, v5
	s_waitcnt lgkmcnt(0)
	v_cmp_nle_f32_e64 s[4:5], v2, v4
	s_or_b64 s[8:9], s[4:5], vcc
	s_and_saveexec_b64 s[4:5], s[8:9]
	s_cbranch_execz .LBB1_171
; %bb.170:                              ;   in Loop: Header=BB1_19 Depth=1
	v_mov_b32_e32 v3, s93
	v_add_co_u32_e32 v0, vcc, s92, v0
	v_addc_co_u32_e32 v1, vcc, v3, v1, vcc
	global_load_dwordx2 v[0:1], v[0:1], off
	s_waitcnt vmcnt(0)
	v_fmac_f32_e32 v0, v30, v1
	v_cmp_lt_f32_e32 vcc, v2, v0
	v_cndmask_b32_e64 v25, 5, 4, vcc
.LBB1_171:                              ;   in Loop: Header=BB1_19 Depth=1
	s_or_b64 exec, exec, s[4:5]
.LBB1_172:                              ;   in Loop: Header=BB1_19 Depth=1
	s_or_b64 exec, exec, s[6:7]
	v_cndmask_b32_e64 v0, 0, 1, s[20:21]
	v_cmp_ne_u32_e32 vcc, 0, v0
	s_and_saveexec_b64 s[4:5], s[18:19]
	s_cbranch_execz .LBB1_174
; %bb.173:                              ;   in Loop: Header=BB1_19 Depth=1
	flat_load_dword v0, v[56:57] glc
	s_waitcnt vmcnt(0)
	s_bcnt1_i32_b32 s6, vcc_lo
	s_waitcnt lgkmcnt(0)
	v_add_u32_e32 v0, s6, v0
	flat_store_dword v[56:57], v0
	s_waitcnt vmcnt(0)
	flat_load_dword v0, v[58:59] glc
	s_waitcnt vmcnt(0) lgkmcnt(0)
	v_add_u32_e32 v0, 1, v0
	flat_store_dword v[58:59], v0
	s_waitcnt vmcnt(0)
.LBB1_174:                              ;   in Loop: Header=BB1_19 Depth=1
	s_or_b64 exec, exec, s[4:5]
.LBB1_175:                              ;   in Loop: Header=BB1_19 Depth=1
	v_mov_b32_e32 v0, v26
	;;#ASMSTART
	;;#ASMEND
	v_cmp_ne_u32_e32 vcc, 0, v0
	s_cmp_eq_u64 vcc, exec
	s_mov_b64 s[54:55], -1
	s_cbranch_scc1 .LBB1_195
; %bb.176:                              ;   in Loop: Header=BB1_19 Depth=1
	v_cmp_eq_u16_sdwa s[20:21], v25, v86 src0_sel:BYTE_0 src1_sel:DWORD
	v_cndmask_b32_e64 v30, 0, 1, s[20:21]
	v_mov_b32_e32 v0, v30
	;;#ASMSTART
	;;#ASMEND
	v_cmp_ne_u32_e32 vcc, 0, v0
	s_cbranch_vccz .LBB1_203
; %bb.177:                              ;   in Loop: Header=BB1_19 Depth=1
	flat_load_ubyte v0, v[52:53] glc
	s_waitcnt vmcnt(0) lgkmcnt(0)
	v_cmp_lt_u32_e32 vcc, 1, v0
	v_add_u32_e32 v0, 1, v0
	s_and_saveexec_b64 s[22:23], vcc
	s_cbranch_execz .LBB1_179
; %bb.178:                              ;   in Loop: Header=BB1_19 Depth=1
	s_add_u32 s8, s16, 8
	s_addc_u32 s9, s17, 0
	s_getpc_b64 s[4:5]
	s_add_u32 s4, s4, _Z17MT_generate_arrayv@rel32@lo+4
	s_addc_u32 s5, s5, _Z17MT_generate_arrayv@rel32@hi+12
	s_swappc_b64 s[30:31], s[4:5]
	v_mov_b32_e32 v0, 0
.LBB1_179:                              ;   in Loop: Header=BB1_19 Depth=1
	s_or_b64 exec, exec, s[22:23]
	s_and_saveexec_b64 s[4:5], s[18:19]
	s_cbranch_execz .LBB1_181
; %bb.180:                              ;   in Loop: Header=BB1_19 Depth=1
	flat_store_byte v[52:53], v0
	s_waitcnt vmcnt(0)
.LBB1_181:                              ;   in Loop: Header=BB1_19 Depth=1
	s_or_b64 exec, exec, s[4:5]
	v_lshl_or_b32 v0, v0, 7, v79
	v_mad_u32_u24 v0, v78, s78, v0
	ds_read_b32 v28, v0 offset:6464
	flat_load_ubyte v0, v[52:53] glc
	s_waitcnt vmcnt(0) lgkmcnt(0)
	v_cmp_lt_u32_e32 vcc, 1, v0
	v_add_u32_e32 v0, 1, v0
	s_and_saveexec_b64 s[22:23], vcc
	s_cbranch_execz .LBB1_183
; %bb.182:                              ;   in Loop: Header=BB1_19 Depth=1
	s_add_u32 s8, s16, 8
	s_addc_u32 s9, s17, 0
	s_getpc_b64 s[4:5]
	s_add_u32 s4, s4, _Z17MT_generate_arrayv@rel32@lo+4
	s_addc_u32 s5, s5, _Z17MT_generate_arrayv@rel32@hi+12
	s_swappc_b64 s[30:31], s[4:5]
	v_mov_b32_e32 v0, 0
.LBB1_183:                              ;   in Loop: Header=BB1_19 Depth=1
	s_or_b64 exec, exec, s[22:23]
	s_and_saveexec_b64 s[4:5], s[18:19]
	s_cbranch_execz .LBB1_185
; %bb.184:                              ;   in Loop: Header=BB1_19 Depth=1
	flat_store_byte v[52:53], v0
	s_waitcnt vmcnt(0)
.LBB1_185:                              ;   in Loop: Header=BB1_19 Depth=1
	s_or_b64 exec, exec, s[4:5]
	v_lshl_or_b32 v0, v0, 7, v79
	v_mad_u32_u24 v0, v78, s78, v0
	ds_read_b32 v29, v0 offset:6464
	;; [unrolled: 26-line block ×3, first 2 shown]
	flat_load_ubyte v0, v[52:53] glc
	s_waitcnt vmcnt(0) lgkmcnt(0)
	v_cmp_lt_u32_e32 vcc, 1, v0
	v_add_u32_e32 v0, 1, v0
	s_and_saveexec_b64 s[22:23], vcc
	s_cbranch_execz .LBB1_196
; %bb.190:                              ;   in Loop: Header=BB1_19 Depth=1
	s_add_u32 s8, s16, 8
	s_addc_u32 s9, s17, 0
	s_getpc_b64 s[4:5]
	s_add_u32 s4, s4, _Z17MT_generate_arrayv@rel32@lo+4
	s_addc_u32 s5, s5, _Z17MT_generate_arrayv@rel32@hi+12
	s_swappc_b64 s[30:31], s[4:5]
	v_mov_b32_e32 v0, 0
	s_or_b64 exec, exec, s[22:23]
	s_and_saveexec_b64 s[4:5], s[18:19]
	s_cbranch_execnz .LBB1_197
.LBB1_191:                              ;   in Loop: Header=BB1_19 Depth=1
	s_or_b64 exec, exec, s[4:5]
	v_mov_b32_e32 v1, 0
	s_and_saveexec_b64 s[6:7], s[20:21]
	s_cbranch_execz .LBB1_198
.LBB1_192:                              ;   in Loop: Header=BB1_19 Depth=1
	buffer_load_dword v8, off, s[0:3], 0 offset:84 ; 4-byte Folded Reload
	v_lshl_or_b32 v0, v0, 7, v79
	v_mad_u32_u24 v0, v78, s78, v0
	ds_read_b32 v0, v0 offset:6464
	s_waitcnt vmcnt(0)
	v_mul_f32_e32 v1, v35, v8
	v_cvt_i32_f32_e32 v2, v1
	v_mov_b32_e32 v1, s47
	v_ashrrev_i32_e32 v3, 31, v2
	v_lshlrev_b64 v[4:5], 2, v[2:3]
	v_add_co_u32_e32 v6, vcc, s46, v4
	v_addc_co_u32_e32 v7, vcc, v1, v5, vcc
	global_load_dword v1, v[6:7], off
	v_cvt_f32_i32_e32 v6, v2
	v_fma_f32 v6, v35, v8, -v6
	s_waitcnt vmcnt(0)
	v_cmp_gt_f32_e32 vcc, v6, v1
	s_and_saveexec_b64 s[4:5], vcc
	s_cbranch_execz .LBB1_194
; %bb.193:                              ;   in Loop: Header=BB1_19 Depth=1
	v_readlane_b32 s8, v127, 19
	v_readlane_b32 s9, v127, 20
	v_mov_b32_e32 v1, s9
	v_add_co_u32_e32 v2, vcc, s8, v4
	v_addc_co_u32_e32 v3, vcc, v1, v5, vcc
	global_load_dword v2, v[2:3], off
	s_waitcnt vmcnt(0)
	v_ashrrev_i32_e32 v3, 31, v2
.LBB1_194:                              ;   in Loop: Header=BB1_19 Depth=1
	s_or_b64 exec, exec, s[4:5]
	v_lshlrev_b64 v[2:3], 2, v[2:3]
	v_add_co_u32_e32 v2, vcc, s44, v2
	v_mov_b32_e32 v1, s45
	v_addc_co_u32_e32 v3, vcc, v1, v3, vcc
	global_load_dwordx2 v[2:3], v[2:3], off
	v_readlane_b32 s4, v127, 21
	v_readlane_b32 s5, v127, 22
	v_pk_mov_b32 v[6:7], s[4:5], s[4:5] op_sel:[0,1]
	v_pk_fma_f32 v[6:7], v[28:29], s[48:49], v[6:7]
	v_pk_add_f32 v[8:9], v[6:7], s[40:41] neg_lo:[0,1] neg_hi:[0,1]
	v_pk_mul_f32 v[6:7], v[8:9], v[8:9]
	v_add_f32_e32 v1, v6, v7
	v_mov_b32_e32 v36, 0
	v_mov_b32_e32 v27, s42
	v_pk_mov_b32 v[54:55], s[40:41], s[40:41] op_sel:[0,1]
	v_mov_b32_e32 v25, 2
	v_mov_b32_e32 v93, 0
	;; [unrolled: 1-line block ×4, first 2 shown]
	s_waitcnt vmcnt(0)
	v_mov_b32_e32 v4, v3
	v_pk_add_f32 v[4:5], v[4:5], v[2:3] neg_lo:[0,1] neg_hi:[0,1]
	buffer_load_dword v5, off, s[0:3], 0 offset:88 ; 4-byte Folded Reload
	s_waitcnt vmcnt(0)
	v_add_f32_e32 v1, v5, v1
	v_div_scale_f32 v5, s[4:5], v1, v1, 1.0
	v_rcp_f32_e32 v6, v5
	v_fma_f32 v7, -v5, v6, 1.0
	v_fmac_f32_e32 v6, v7, v6
	v_div_scale_f32 v7, vcc, 1.0, v1, 1.0
	v_mul_f32_e32 v10, v7, v6
	v_fma_f32 v11, -v5, v10, v7
	v_fmac_f32_e32 v10, v11, v6
	v_fma_f32 v5, -v5, v10, v7
	v_div_fmas_f32 v5, v5, v6, v10
	v_div_fixup_f32 v7, v5, v1, 1.0
	v_cmp_gt_f32_e32 vcc, s96, v7
	v_mul_f32_e32 v1, 0x4f800000, v7
	v_cndmask_b32_e32 v1, v7, v1, vcc
	v_sqrt_f32_e32 v5, v1
	v_add_u32_e32 v6, -1, v5
	v_fma_f32 v10, -v6, v5, v1
	v_cmp_ge_f32_e64 s[4:5], 0, v10
	v_add_u32_e32 v10, 1, v5
	v_cndmask_b32_e64 v6, v5, v6, s[4:5]
	v_fma_f32 v5, -v10, v5, v1
	v_cmp_lt_f32_e64 s[4:5], 0, v5
	v_cndmask_b32_e64 v5, v6, v10, s[4:5]
	v_mul_f32_e32 v6, 0x37800000, v5
	v_cndmask_b32_e32 v5, v5, v6, vcc
	v_cmp_class_f32_e32 vcc, v1, v82
	v_cndmask_b32_e32 v6, v5, v1, vcc
	buffer_load_dword v1, off, s[0:3], 0    ; 4-byte Folded Reload
	v_pk_mul_f32 v[32:33], v[8:9], v[6:7] op_sel_hi:[1,0]
	s_waitcnt vmcnt(0)
	v_mul_f32_e32 v34, v1, v6
	v_and_b32_e32 v5, 0x7fffffff, v34
	v_mov_b32_e32 v1, s50
	s_waitcnt lgkmcnt(0)
	v_pk_mul_f32 v[8:9], v[0:1], v[4:5]
	v_mov_b32_e32 v6, v2
	v_pk_fma_f32 v[48:49], v[0:1], v[4:5], v[2:3]
	v_pk_mul_f32 v[0:1], v[6:7], v[8:9]
	v_mov_b32_e32 v49, v1
	s_or_b64 exec, exec, s[6:7]
	flat_store_dword v[60:61], v1
	s_waitcnt vmcnt(0)
	s_and_saveexec_b64 s[4:5], s[18:19]
	s_cbranch_execnz .LBB1_199
	s_branch .LBB1_200
.LBB1_195:                              ;   in Loop: Header=BB1_19 Depth=1
                                        ; implicit-def: $sgpr4_sgpr5
                                        ; implicit-def: $vgpr30
	s_cbranch_execnz .LBB1_18
	s_branch .LBB1_397
.LBB1_196:                              ;   in Loop: Header=BB1_19 Depth=1
	s_or_b64 exec, exec, s[22:23]
	s_and_saveexec_b64 s[4:5], s[18:19]
	s_cbranch_execz .LBB1_191
.LBB1_197:                              ;   in Loop: Header=BB1_19 Depth=1
	flat_store_byte v[52:53], v0
	s_waitcnt vmcnt(0)
	s_or_b64 exec, exec, s[4:5]
	v_mov_b32_e32 v1, 0
	s_and_saveexec_b64 s[6:7], s[20:21]
	s_cbranch_execnz .LBB1_192
.LBB1_198:                              ;   in Loop: Header=BB1_19 Depth=1
	s_or_b64 exec, exec, s[6:7]
	flat_store_dword v[60:61], v1
	s_waitcnt vmcnt(0)
	s_and_saveexec_b64 s[4:5], s[18:19]
	s_cbranch_execz .LBB1_200
.LBB1_199:                              ;   in Loop: Header=BB1_19 Depth=1
	flat_load_dword v0, v[46:47] glc
	s_waitcnt vmcnt(0)
	buffer_load_dword v2, off, s[0:3], 0 offset:4 ; 4-byte Folded Reload
	buffer_load_dword v3, off, s[0:3], 0 offset:8 ; 4-byte Folded Reload
	s_waitcnt lgkmcnt(0)
	v_cvt_f64_f32_e32 v[0:1], v0
	s_waitcnt vmcnt(0)
	flat_load_dword v2, v[2:3] glc
	s_waitcnt vmcnt(0)
	v_add_f64 v[0:1], v[0:1], 0
	s_waitcnt lgkmcnt(0)
	v_cvt_f64_f32_e32 v[2:3], v2
	v_add_f64 v[0:1], v[0:1], v[2:3]
	buffer_load_dword v2, off, s[0:3], 0 offset:20 ; 4-byte Folded Reload
	buffer_load_dword v3, off, s[0:3], 0 offset:24 ; 4-byte Folded Reload
	s_waitcnt vmcnt(0)
	flat_load_dword v2, v[2:3] glc
	s_waitcnt vmcnt(0) lgkmcnt(0)
	v_cvt_f64_f32_e32 v[2:3], v2
	v_add_f64 v[0:1], v[0:1], v[2:3]
	buffer_load_dword v2, off, s[0:3], 0 offset:28 ; 4-byte Folded Reload
	buffer_load_dword v3, off, s[0:3], 0 offset:32 ; 4-byte Folded Reload
	s_waitcnt vmcnt(0)
	flat_load_dword v2, v[2:3] glc
	s_waitcnt vmcnt(0) lgkmcnt(0)
	;; [unrolled: 7-line block ×8, first 2 shown]
	v_cvt_f64_f32_e32 v[2:3], v2
	v_add_f64 v[0:1], v[0:1], v[2:3]
	flat_load_dword v2, v[94:95] glc
	s_waitcnt vmcnt(0) lgkmcnt(0)
	v_cvt_f64_f32_e32 v[2:3], v2
	v_add_f64 v[0:1], v[0:1], v[2:3]
	flat_load_dword v2, v[96:97] glc
	s_waitcnt vmcnt(0) lgkmcnt(0)
	;; [unrolled: 4-line block ×22, first 2 shown]
	v_cvt_f64_f32_e32 v[2:3], v2
	v_add_f64 v[0:1], v[0:1], v[2:3]
	flat_load_dwordx2 v[2:3], v[62:63] glc
	s_waitcnt vmcnt(0) lgkmcnt(0)
	v_add_f64 v[0:1], v[0:1], v[2:3]
	flat_store_dwordx2 v[62:63], v[0:1]
	s_waitcnt vmcnt(0)
.LBB1_200:                              ;   in Loop: Header=BB1_19 Depth=1
	s_or_b64 exec, exec, s[4:5]
	v_cndmask_b32_e64 v0, 0, 1, s[20:21]
	v_cmp_ne_u32_e32 vcc, 0, v0
	s_and_saveexec_b64 s[4:5], s[18:19]
	s_cbranch_execz .LBB1_202
; %bb.201:                              ;   in Loop: Header=BB1_19 Depth=1
	flat_load_dword v0, v[64:65] glc
	s_waitcnt vmcnt(0)
	s_bcnt1_i32_b32 s6, vcc_lo
	s_waitcnt lgkmcnt(0)
	v_add_u32_e32 v0, s6, v0
	flat_store_dword v[64:65], v0
	s_waitcnt vmcnt(0)
	flat_load_dword v0, v[58:59] glc
	s_waitcnt vmcnt(0) lgkmcnt(0)
	v_add_u32_e32 v0, 1, v0
	flat_store_dword v[58:59], v0
	s_waitcnt vmcnt(0)
.LBB1_202:                              ;   in Loop: Header=BB1_19 Depth=1
	s_or_b64 exec, exec, s[4:5]
.LBB1_203:                              ;   in Loop: Header=BB1_19 Depth=1
	v_or_b32_e32 v14, v30, v26
	v_mov_b32_e32 v0, v14
	;;#ASMSTART
	;;#ASMEND
	v_cmp_ne_u32_e32 vcc, 0, v0
	s_cmp_eq_u64 vcc, exec
	s_cbranch_scc1 .LBB1_396
; %bb.204:                              ;   in Loop: Header=BB1_19 Depth=1
	v_mov_b32_e32 v0, 1
	v_cmp_eq_u16_sdwa s[12:13], v25, v0 src0_sel:BYTE_0 src1_sel:DWORD
	v_cndmask_b32_e64 v30, 0, 1, s[12:13]
	v_mov_b32_e32 v0, v30
	;;#ASMSTART
	;;#ASMEND
	v_cmp_ne_u32_e32 vcc, 0, v0
	s_cbranch_vccz .LBB1_296
; %bb.205:                              ;   in Loop: Header=BB1_19 Depth=1
	s_and_saveexec_b64 s[14:15], s[12:13]
	s_cbranch_execz .LBB1_293
; %bb.206:                              ;   in Loop: Header=BB1_19 Depth=1
	v_cmp_eq_u16_sdwa s[4:5], v81, v37 src0_sel:BYTE_0 src1_sel:DWORD
	v_cmp_eq_u32_e32 vcc, 0, v36
	s_and_b64 s[4:5], s[4:5], vcc
	s_waitcnt vmcnt(0)
	v_cmp_neq_f32_e32 vcc, 0, v34
	s_and_b64 s[4:5], s[4:5], vcc
	v_mov_b32_e32 v25, 8
	s_and_saveexec_b64 s[20:21], s[4:5]
	s_cbranch_execz .LBB1_292
; %bb.207:                              ;   in Loop: Header=BB1_19 Depth=1
	v_readlane_b32 s4, v127, 23
	v_readlane_b32 s6, v127, 25
	;; [unrolled: 1-line block ×3, first 2 shown]
	v_sub_f32_e32 v0, s6, v27
	v_div_scale_f32 v1, s[4:5], v34, v34, v0
	v_rcp_f32_e32 v2, v1
	v_div_scale_f32 v3, vcc, v0, v34, v0
	v_mov_b32_e32 v25, 8
	v_fma_f32 v4, -v1, v2, 1.0
	v_fmac_f32_e32 v2, v4, v2
	v_mul_f32_e32 v4, v3, v2
	v_fma_f32 v5, -v1, v4, v3
	v_fmac_f32_e32 v4, v5, v2
	v_fma_f32 v1, -v1, v4, v3
	v_div_fmas_f32 v1, v1, v2, v4
	v_div_fixup_f32 v1, v1, v34, v0
	v_cmp_ngt_f32_e32 vcc, 0, v1
	v_readlane_b32 s7, v127, 26
	s_and_saveexec_b64 s[22:23], vcc
	s_cbranch_execz .LBB1_291
; %bb.208:                              ;   in Loop: Header=BB1_19 Depth=1
	v_fma_f32 v0, v32, v1, v54
	v_readlane_b32 s4, v127, 23
	v_readlane_b32 s5, v127, 24
	v_subrev_f32_e32 v0, s4, v0
	v_div_scale_f32 v2, s[4:5], s56, s56, v0
	v_rcp_f32_e32 v3, v2
	v_div_scale_f32 v4, vcc, v0, s56, v0
	v_readlane_b32 s6, v127, 25
	v_fma_f32 v5, -v2, v3, 1.0
	v_fmac_f32_e32 v3, v5, v3
	v_mul_f32_e32 v5, v4, v3
	v_fma_f32 v6, -v2, v5, v4
	v_fmac_f32_e32 v5, v6, v3
	v_fma_f32 v2, -v2, v5, v4
	v_div_fmas_f32 v2, v2, v3, v5
	v_div_fixup_f32 v0, v2, s56, v0
	buffer_load_dword v2, off, s[0:3], 0 offset:132 ; 4-byte Folded Reload
	v_readlane_b32 s7, v127, 26
	s_waitcnt vmcnt(0)
	v_add_f32_e32 v3, v0, v2
	v_floor_f32_e32 v2, v3
	v_sub_u32_e32 v4, 0x80000000, v3
	v_cmp_gt_i32_e32 vcc, 0, v3
	v_sub_u32_e32 v0, 0x80000000, v2
	v_cndmask_b32_e32 v4, v3, v4, vcc
	v_cmp_gt_i32_e32 vcc, 0, v2
	v_cndmask_b32_e32 v0, v2, v0, vcc
	v_sub_u32_e32 v0, v4, v0
	v_sub_u32_e32 v5, 0, v0
	v_max_i32_e32 v0, v0, v5
	v_cmp_lt_u32_e32 vcc, 20, v0
	v_mov_b32_e32 v0, 1
	s_and_saveexec_b64 s[4:5], vcc
; %bb.209:                              ;   in Loop: Header=BB1_19 Depth=1
	v_ceil_f32_e32 v0, v3
	v_sub_u32_e32 v3, 0x80000000, v0
	v_cmp_gt_i32_e32 vcc, 0, v0
	v_cndmask_b32_e32 v3, v0, v3, vcc
	v_sub_u32_e32 v3, v4, v3
	v_sub_u32_e32 v4, 0, v3
	v_max_i32_e32 v3, v3, v4
	v_cmp_gt_u32_e32 vcc, 21, v3
	v_cndmask_b32_e32 v2, v2, v0, vcc
	v_cndmask_b32_e64 v0, 0, 1, vcc
; %bb.210:                              ;   in Loop: Header=BB1_19 Depth=1
	s_or_b64 exec, exec, s[4:5]
	v_readlane_b32 s4, v127, 23
	v_fma_f32 v1, v33, v1, v55
	v_readlane_b32 s5, v127, 24
	v_subrev_f32_e32 v1, s5, v1
	v_div_scale_f32 v3, s[4:5], s57, s57, v1
	v_rcp_f32_e32 v4, v3
	v_div_scale_f32 v5, vcc, v1, s57, v1
	v_readlane_b32 s6, v127, 25
	v_fma_f32 v6, -v3, v4, 1.0
	v_fmac_f32_e32 v4, v6, v4
	v_mul_f32_e32 v6, v5, v4
	v_fma_f32 v7, -v3, v6, v5
	v_fmac_f32_e32 v6, v7, v4
	v_fma_f32 v3, -v3, v6, v5
	v_div_fmas_f32 v3, v3, v4, v6
	v_div_fixup_f32 v1, v3, s57, v1
	buffer_load_dword v3, off, s[0:3], 0 offset:136 ; 4-byte Folded Reload
	v_readlane_b32 s7, v127, 26
	s_waitcnt vmcnt(0)
	v_add_f32_e32 v1, v1, v3
	v_floor_f32_e32 v3, v1
	v_sub_u32_e32 v4, 0x80000000, v1
	v_cmp_gt_i32_e32 vcc, 0, v1
	v_sub_u32_e32 v5, 0x80000000, v3
	v_cndmask_b32_e32 v4, v1, v4, vcc
	v_cmp_gt_i32_e32 vcc, 0, v3
	v_cndmask_b32_e32 v5, v3, v5, vcc
	v_sub_u32_e32 v5, v4, v5
	v_sub_u32_e32 v6, 0, v5
	v_max_i32_e32 v5, v5, v6
	v_cmp_lt_u32_e32 vcc, 20, v5
	v_or_b32_e32 v5, 2, v0
	s_and_saveexec_b64 s[4:5], vcc
	s_xor_b64 s[4:5], exec, s[4:5]
; %bb.211:                              ;   in Loop: Header=BB1_19 Depth=1
	v_ceil_f32_e32 v1, v1
	v_sub_u32_e32 v5, 0x80000000, v1
	v_cmp_gt_i32_e32 vcc, 0, v1
	v_cndmask_b32_e32 v5, v1, v5, vcc
	v_sub_u32_e32 v4, v4, v5
	v_sub_u32_e32 v5, 0, v4
	v_max_i32_e32 v4, v4, v5
	v_or_b32_e32 v5, 2, v0
	v_cmp_gt_u32_e32 vcc, 21, v4
	v_cndmask_b32_e32 v3, v3, v1, vcc
	v_cndmask_b32_e32 v5, v0, v5, vcc
; %bb.212:                              ;   in Loop: Header=BB1_19 Depth=1
	s_andn2_saveexec_b64 s[4:5], s[4:5]
	s_or_b64 exec, exec, s[4:5]
	v_cmp_lt_i32_e32 vcc, 0, v24
	s_mov_b64 s[6:7], 0
                                        ; implicit-def: $vgpr0_vgpr1
	s_and_saveexec_b64 s[4:5], vcc
	s_xor_b64 s[4:5], exec, s[4:5]
	s_cbranch_execz .LBB1_263
; %bb.213:                              ;   in Loop: Header=BB1_19 Depth=1
	s_mov_b32 s6, 0xffff
	v_cmp_lt_i32_e32 vcc, s6, v24
	s_mov_b64 s[6:7], 0
                                        ; implicit-def: $sgpr10_sgpr11
	s_and_saveexec_b64 s[8:9], vcc
	s_xor_b64 s[8:9], exec, s[8:9]
	s_cbranch_execz .LBB1_217
; %bb.214:                              ;   in Loop: Header=BB1_19 Depth=1
	s_mov_b32 s6, 0x10000
	v_cmp_eq_u32_e32 vcc, s6, v24
	s_mov_b64 s[6:7], -1
                                        ; implicit-def: $sgpr10_sgpr11
	s_and_saveexec_b64 s[30:31], vcc
; %bb.215:                              ;   in Loop: Header=BB1_19 Depth=1
	s_mov_b64 s[10:11], 2
	s_xor_b64 s[6:7], exec, -1
; %bb.216:                              ;   in Loop: Header=BB1_19 Depth=1
	s_or_b64 exec, exec, s[30:31]
	s_and_b64 s[6:7], s[6:7], exec
.LBB1_217:                              ;   in Loop: Header=BB1_19 Depth=1
	s_or_saveexec_b64 s[8:9], s[8:9]
	v_pk_mov_b32 v[0:1], s[10:11], s[10:11] op_sel:[0,1]
	s_xor_b64 exec, exec, s[8:9]
	s_cbranch_execz .LBB1_221
; %bb.218:                              ;   in Loop: Header=BB1_19 Depth=1
	v_cmp_eq_u32_e32 vcc, 1, v24
	s_mov_b64 s[10:11], -1
                                        ; implicit-def: $sgpr30_sgpr31
	s_and_saveexec_b64 s[82:83], vcc
; %bb.219:                              ;   in Loop: Header=BB1_19 Depth=1
	s_mov_b64 s[30:31], 1
	s_xor_b64 s[10:11], exec, -1
; %bb.220:                              ;   in Loop: Header=BB1_19 Depth=1
	s_or_b64 exec, exec, s[82:83]
	s_andn2_b64 s[6:7], s[6:7], exec
	s_and_b64 s[10:11], s[10:11], exec
	v_pk_mov_b32 v[0:1], s[30:31], s[30:31] op_sel:[0,1]
	s_or_b64 s[6:7], s[6:7], s[10:11]
.LBB1_221:                              ;   in Loop: Header=BB1_19 Depth=1
	s_or_b64 exec, exec, s[8:9]
	s_and_b64 s[6:7], s[6:7], exec
	s_andn2_saveexec_b64 s[4:5], s[4:5]
	s_cbranch_execnz .LBB1_264
.LBB1_222:                              ;   in Loop: Header=BB1_19 Depth=1
	s_or_b64 exec, exec, s[4:5]
	s_and_saveexec_b64 s[4:5], s[6:7]
.LBB1_223:                              ;   in Loop: Header=BB1_19 Depth=1
	v_mov_b32_e32 v0, 3
	v_mov_b32_e32 v1, 0
.LBB1_224:                              ;   in Loop: Header=BB1_19 Depth=1
	s_or_b64 exec, exec, s[4:5]
	v_cvt_i32_f32_e32 v3, v3
	v_cvt_i32_f32_e32 v2, v2
	v_cmp_lt_i32_e32 vcc, 1, v5
	s_mov_b64 s[8:9], 0
                                        ; implicit-def: $vgpr25
                                        ; implicit-def: $vgpr8
                                        ; implicit-def: $vgpr4
	s_and_saveexec_b64 s[4:5], vcc
	s_xor_b64 s[30:31], exec, s[4:5]
	s_cbranch_execz .LBB1_265
; %bb.225:                              ;   in Loop: Header=BB1_19 Depth=1
	v_cmp_lt_i32_e32 vcc, 2, v5
                                        ; implicit-def: $sgpr6
                                        ; implicit-def: $vgpr8
                                        ; implicit-def: $vgpr4
	s_and_saveexec_b64 s[4:5], vcc
	s_xor_b64 s[82:83], exec, s[4:5]
	s_cbranch_execz .LBB1_249
; %bb.226:                              ;   in Loop: Header=BB1_19 Depth=1
	v_mul_f32_e32 v49, 0x3e800000, v49
	v_mul_f32_e32 v48, v49, v48
	v_cmp_lt_i32_e64 s[4:5], -1, v2
	s_and_saveexec_b64 s[8:9], s[4:5]
	s_cbranch_execz .LBB1_232
; %bb.227:                              ;   in Loop: Header=BB1_19 Depth=1
	v_cmp_gt_i32_e32 vcc, s58, v2
	v_cmp_lt_i32_e64 s[6:7], -1, v3
	s_and_b64 s[6:7], vcc, s[6:7]
	v_cmp_gt_i32_e32 vcc, s59, v3
	s_and_b64 s[6:7], s[6:7], vcc
	s_and_b64 exec, exec, s[6:7]
	s_cbranch_execz .LBB1_232
; %bb.228:                              ;   in Loop: Header=BB1_19 Depth=1
	s_lshl_b64 s[6:7], s[28:29], 5
	s_getpc_b64 s[10:11]
	s_add_u32 s10, s10, detector_scores_count@rel32@lo+4
	s_addc_u32 s11, s11, detector_scores_count@rel32@hi+12
	s_add_u32 s10, s6, s10
	v_lshlrev_b64 v[4:5], 3, v[0:1]
	s_addc_u32 s11, s7, s11
	v_mov_b32_e32 v7, s11
	v_add_co_u32_e32 v6, vcc, s10, v4
	v_addc_co_u32_e32 v7, vcc, v7, v5, vcc
	global_load_dwordx2 v[8:9], v[6:7], off
	v_mad_u64_u32 v[6:7], s[10:11], s58, v3, v[2:3]
	v_mov_b32_e32 v7, v37
	v_lshlrev_b64 v[6:7], 2, v[6:7]
	s_mov_b64 s[10:11], 0
	s_waitcnt vmcnt(0)
	v_add_co_u32_e32 v8, vcc, v8, v6
	v_addc_co_u32_e32 v9, vcc, v9, v7, vcc
	global_load_dword v11, v[8:9], off
.LBB1_229:                              ;   Parent Loop BB1_19 Depth=1
                                        ; =>  This Inner Loop Header: Depth=2
	s_waitcnt vmcnt(0)
	v_add_f32_e32 v10, v11, v49
	global_atomic_cmpswap v10, v[8:9], v[10:11], off glc
	s_waitcnt vmcnt(0)
	v_cmp_eq_u32_e32 vcc, v10, v11
	s_or_b64 s[10:11], vcc, s[10:11]
	v_mov_b32_e32 v11, v10
	s_andn2_b64 exec, exec, s[10:11]
	s_cbranch_execnz .LBB1_229
; %bb.230:                              ;   in Loop: Header=BB1_19 Depth=1
	s_or_b64 exec, exec, s[10:11]
	s_getpc_b64 s[10:11]
	s_add_u32 s10, s10, detector_scores_energy@rel32@lo+4
	s_addc_u32 s11, s11, detector_scores_energy@rel32@hi+12
	s_add_u32 s6, s6, s10
	s_addc_u32 s7, s7, s11
	v_mov_b32_e32 v8, s7
	v_add_co_u32_e32 v4, vcc, s6, v4
	v_addc_co_u32_e32 v5, vcc, v8, v5, vcc
	global_load_dwordx2 v[4:5], v[4:5], off
	s_mov_b64 s[6:7], 0
	s_waitcnt vmcnt(0)
	v_add_co_u32_e32 v4, vcc, v4, v6
	v_addc_co_u32_e32 v5, vcc, v5, v7, vcc
	global_load_dword v7, v[4:5], off
.LBB1_231:                              ;   Parent Loop BB1_19 Depth=1
                                        ; =>  This Inner Loop Header: Depth=2
	s_waitcnt vmcnt(0)
	v_add_f32_e32 v6, v7, v48
	global_atomic_cmpswap v6, v[4:5], v[6:7], off glc
	s_waitcnt vmcnt(0)
	v_cmp_eq_u32_e32 vcc, v6, v7
	s_or_b64 s[6:7], vcc, s[6:7]
	v_mov_b32_e32 v7, v6
	s_andn2_b64 exec, exec, s[6:7]
	s_cbranch_execnz .LBB1_231
.LBB1_232:                              ;   in Loop: Header=BB1_19 Depth=1
	s_or_b64 exec, exec, s[8:9]
	v_add_u32_e32 v6, -1, v2
	v_cmp_lt_i32_e32 vcc, 0, v2
	s_and_saveexec_b64 s[84:85], vcc
	s_cbranch_execz .LBB1_238
; %bb.233:                              ;   in Loop: Header=BB1_19 Depth=1
	v_cmp_lt_i32_e64 s[8:9], -1, v3
	v_cmp_gt_i32_e64 s[10:11], s59, v3
	v_cmp_ge_i32_e64 s[6:7], s58, v2
	s_and_b64 s[8:9], s[8:9], s[10:11]
	s_and_b64 s[6:7], s[8:9], s[6:7]
	s_and_b64 exec, exec, s[6:7]
	s_cbranch_execz .LBB1_238
; %bb.234:                              ;   in Loop: Header=BB1_19 Depth=1
	s_lshl_b64 s[8:9], s[28:29], 5
	s_getpc_b64 s[6:7]
	s_add_u32 s6, s6, detector_scores_count@rel32@lo+4
	s_addc_u32 s7, s7, detector_scores_count@rel32@hi+12
	s_add_u32 s6, s8, s6
	v_lshlrev_b64 v[4:5], 3, v[0:1]
	s_addc_u32 s7, s9, s7
	v_mov_b32_e32 v7, s7
	v_add_co_u32_e64 v8, s[6:7], s6, v4
	v_addc_co_u32_e64 v9, s[6:7], v7, v5, s[6:7]
	global_load_dwordx2 v[10:11], v[8:9], off
	v_mad_u64_u32 v[8:9], s[6:7], s58, v3, v[6:7]
	v_mov_b32_e32 v9, v37
	v_lshlrev_b64 v[8:9], 2, v[8:9]
	s_mov_b64 s[10:11], 0
	s_waitcnt vmcnt(0)
	v_add_co_u32_e64 v10, s[6:7], v10, v8
	v_addc_co_u32_e64 v11, s[6:7], v11, v9, s[6:7]
	global_load_dword v13, v[10:11], off
.LBB1_235:                              ;   Parent Loop BB1_19 Depth=1
                                        ; =>  This Inner Loop Header: Depth=2
	s_waitcnt vmcnt(0)
	v_add_f32_e32 v12, v13, v49
	global_atomic_cmpswap v7, v[10:11], v[12:13], off glc
	s_waitcnt vmcnt(0)
	v_cmp_eq_u32_e64 s[6:7], v7, v13
	s_or_b64 s[10:11], s[6:7], s[10:11]
	v_mov_b32_e32 v13, v7
	s_andn2_b64 exec, exec, s[10:11]
	s_cbranch_execnz .LBB1_235
; %bb.236:                              ;   in Loop: Header=BB1_19 Depth=1
	s_or_b64 exec, exec, s[10:11]
	s_getpc_b64 s[6:7]
	s_add_u32 s6, s6, detector_scores_energy@rel32@lo+4
	s_addc_u32 s7, s7, detector_scores_energy@rel32@hi+12
	s_add_u32 s6, s8, s6
	s_addc_u32 s7, s9, s7
	v_mov_b32_e32 v7, s7
	v_add_co_u32_e64 v4, s[6:7], s6, v4
	v_addc_co_u32_e64 v5, s[6:7], v7, v5, s[6:7]
	global_load_dwordx2 v[4:5], v[4:5], off
	s_mov_b64 s[8:9], 0
	s_waitcnt vmcnt(0)
	v_add_co_u32_e64 v4, s[6:7], v4, v8
	v_addc_co_u32_e64 v5, s[6:7], v5, v9, s[6:7]
	global_load_dword v9, v[4:5], off
.LBB1_237:                              ;   Parent Loop BB1_19 Depth=1
                                        ; =>  This Inner Loop Header: Depth=2
	s_waitcnt vmcnt(0)
	v_add_f32_e32 v8, v9, v48
	global_atomic_cmpswap v7, v[4:5], v[8:9], off glc
	s_waitcnt vmcnt(0)
	v_cmp_eq_u32_e64 s[6:7], v7, v9
	s_or_b64 s[8:9], s[6:7], s[8:9]
	v_mov_b32_e32 v9, v7
	s_andn2_b64 exec, exec, s[8:9]
	s_cbranch_execnz .LBB1_237
.LBB1_238:                              ;   in Loop: Header=BB1_19 Depth=1
	s_or_b64 exec, exec, s[84:85]
	v_add_u32_e32 v7, -1, v3
	s_and_saveexec_b64 s[8:9], s[4:5]
	s_cbranch_execz .LBB1_244
; %bb.239:                              ;   in Loop: Header=BB1_19 Depth=1
	v_cmp_gt_i32_e64 s[4:5], s58, v2
	v_cmp_lt_i32_e64 s[6:7], 0, v3
	s_and_b64 s[6:7], s[4:5], s[6:7]
	v_cmp_ge_i32_e64 s[4:5], s59, v3
	s_and_b64 s[4:5], s[6:7], s[4:5]
	s_and_b64 exec, exec, s[4:5]
	s_cbranch_execz .LBB1_244
; %bb.240:                              ;   in Loop: Header=BB1_19 Depth=1
	s_lshl_b64 s[6:7], s[28:29], 5
	s_getpc_b64 s[4:5]
	s_add_u32 s4, s4, detector_scores_count@rel32@lo+4
	s_addc_u32 s5, s5, detector_scores_count@rel32@hi+12
	s_add_u32 s4, s6, s4
	v_lshlrev_b64 v[4:5], 3, v[0:1]
	s_addc_u32 s5, s7, s5
	v_mov_b32_e32 v9, s5
	v_add_co_u32_e64 v8, s[4:5], s4, v4
	v_addc_co_u32_e64 v9, s[4:5], v9, v5, s[4:5]
	global_load_dwordx2 v[10:11], v[8:9], off
	v_mad_u64_u32 v[8:9], s[4:5], v7, s58, v[2:3]
	v_mov_b32_e32 v9, v37
	v_lshlrev_b64 v[8:9], 2, v[8:9]
	s_mov_b64 s[10:11], 0
	s_waitcnt vmcnt(0)
	v_add_co_u32_e64 v10, s[4:5], v10, v8
	v_addc_co_u32_e64 v11, s[4:5], v11, v9, s[4:5]
	global_load_dword v13, v[10:11], off
.LBB1_241:                              ;   Parent Loop BB1_19 Depth=1
                                        ; =>  This Inner Loop Header: Depth=2
	s_waitcnt vmcnt(0)
	v_add_f32_e32 v12, v13, v49
	global_atomic_cmpswap v12, v[10:11], v[12:13], off glc
	s_waitcnt vmcnt(0)
	v_cmp_eq_u32_e64 s[4:5], v12, v13
	s_or_b64 s[10:11], s[4:5], s[10:11]
	v_mov_b32_e32 v13, v12
	s_andn2_b64 exec, exec, s[10:11]
	s_cbranch_execnz .LBB1_241
; %bb.242:                              ;   in Loop: Header=BB1_19 Depth=1
	s_or_b64 exec, exec, s[10:11]
	s_getpc_b64 s[4:5]
	s_add_u32 s4, s4, detector_scores_energy@rel32@lo+4
	s_addc_u32 s5, s5, detector_scores_energy@rel32@hi+12
	s_add_u32 s4, s6, s4
	s_addc_u32 s5, s7, s5
	v_mov_b32_e32 v10, s5
	v_add_co_u32_e64 v4, s[4:5], s4, v4
	v_addc_co_u32_e64 v5, s[4:5], v10, v5, s[4:5]
	global_load_dwordx2 v[4:5], v[4:5], off
	s_mov_b64 s[6:7], 0
	s_waitcnt vmcnt(0)
	v_add_co_u32_e64 v4, s[4:5], v4, v8
	v_addc_co_u32_e64 v5, s[4:5], v5, v9, s[4:5]
	global_load_dword v9, v[4:5], off
.LBB1_243:                              ;   Parent Loop BB1_19 Depth=1
                                        ; =>  This Inner Loop Header: Depth=2
	s_waitcnt vmcnt(0)
	v_add_f32_e32 v8, v9, v48
	global_atomic_cmpswap v8, v[4:5], v[8:9], off glc
	s_waitcnt vmcnt(0)
	v_cmp_eq_u32_e64 s[4:5], v8, v9
	s_or_b64 s[6:7], s[4:5], s[6:7]
	v_mov_b32_e32 v9, v8
	s_andn2_b64 exec, exec, s[6:7]
	s_cbranch_execnz .LBB1_243
.LBB1_244:                              ;   in Loop: Header=BB1_19 Depth=1
	s_or_b64 exec, exec, s[8:9]
	s_mov_b64 s[4:5], 0
                                        ; implicit-def: $vgpr8
                                        ; implicit-def: $vgpr4
	s_and_saveexec_b64 s[8:9], vcc
	s_cbranch_execz .LBB1_248
; %bb.245:                              ;   in Loop: Header=BB1_19 Depth=1
	v_cmp_ge_i32_e32 vcc, s58, v2
	v_cmp_ge_i32_e64 s[6:7], s59, v3
	v_cmp_lt_i32_e64 s[4:5], 0, v3
	s_and_b64 s[6:7], vcc, s[6:7]
	s_and_b64 s[6:7], s[6:7], s[4:5]
	s_mov_b64 s[4:5], 0
                                        ; implicit-def: $vgpr4
	s_and_saveexec_b64 s[10:11], s[6:7]
	s_xor_b64 s[6:7], exec, s[10:11]
; %bb.246:                              ;   in Loop: Header=BB1_19 Depth=1
	v_mad_u64_u32 v[4:5], s[4:5], v7, s58, v[6:7]
	s_mov_b64 s[4:5], exec
; %bb.247:                              ;   in Loop: Header=BB1_19 Depth=1
	s_or_b64 exec, exec, s[6:7]
	v_mov_b32_e32 v8, v48
	s_and_b64 s[4:5], s[4:5], exec
.LBB1_248:                              ;   in Loop: Header=BB1_19 Depth=1
	s_or_b64 exec, exec, s[8:9]
	s_mov_b32 s6, 8
	s_and_b64 s[8:9], s[4:5], exec
                                        ; implicit-def: $vgpr2
                                        ; implicit-def: $vgpr3
.LBB1_249:                              ;   in Loop: Header=BB1_19 Depth=1
	s_or_saveexec_b64 s[10:11], s[82:83]
	v_mov_b32_e32 v25, s6
	s_xor_b64 exec, exec, s[10:11]
	s_cbranch_execz .LBB1_261
; %bb.250:                              ;   in Loop: Header=BB1_19 Depth=1
	v_mul_f32_e32 v49, 0.5, v49
	v_mul_f32_e32 v48, v49, v48
	v_cmp_lt_i32_e32 vcc, -1, v2
	s_and_saveexec_b64 s[82:83], vcc
	s_cbranch_execz .LBB1_256
; %bb.251:                              ;   in Loop: Header=BB1_19 Depth=1
	v_cmp_gt_i32_e64 s[4:5], s58, v2
	v_cmp_lt_i32_e64 s[6:7], -1, v3
	s_and_b64 s[6:7], s[4:5], s[6:7]
	v_cmp_gt_i32_e64 s[4:5], s59, v3
	s_and_b64 s[4:5], s[6:7], s[4:5]
	s_and_b64 exec, exec, s[4:5]
	s_cbranch_execz .LBB1_256
; %bb.252:                              ;   in Loop: Header=BB1_19 Depth=1
	s_lshl_b64 s[6:7], s[28:29], 5
	s_getpc_b64 s[4:5]
	s_add_u32 s4, s4, detector_scores_count@rel32@lo+4
	s_addc_u32 s5, s5, detector_scores_count@rel32@hi+12
	s_add_u32 s4, s6, s4
	v_lshlrev_b64 v[4:5], 3, v[0:1]
	s_addc_u32 s5, s7, s5
	v_mov_b32_e32 v7, s5
	v_add_co_u32_e64 v6, s[4:5], s4, v4
	v_addc_co_u32_e64 v7, s[4:5], v7, v5, s[4:5]
	global_load_dwordx2 v[8:9], v[6:7], off
	v_mad_u64_u32 v[6:7], s[4:5], s58, v3, v[2:3]
	v_mov_b32_e32 v7, v37
	v_lshlrev_b64 v[6:7], 2, v[6:7]
	s_mov_b64 s[84:85], 0
	s_waitcnt vmcnt(0)
	v_add_co_u32_e64 v8, s[4:5], v8, v6
	v_addc_co_u32_e64 v9, s[4:5], v9, v7, s[4:5]
	global_load_dword v11, v[8:9], off
.LBB1_253:                              ;   Parent Loop BB1_19 Depth=1
                                        ; =>  This Inner Loop Header: Depth=2
	s_waitcnt vmcnt(0)
	v_add_f32_e32 v10, v11, v49
	global_atomic_cmpswap v10, v[8:9], v[10:11], off glc
	s_waitcnt vmcnt(0)
	v_cmp_eq_u32_e64 s[4:5], v10, v11
	s_or_b64 s[84:85], s[4:5], s[84:85]
	v_mov_b32_e32 v11, v10
	s_andn2_b64 exec, exec, s[84:85]
	s_cbranch_execnz .LBB1_253
; %bb.254:                              ;   in Loop: Header=BB1_19 Depth=1
	s_or_b64 exec, exec, s[84:85]
	s_getpc_b64 s[4:5]
	s_add_u32 s4, s4, detector_scores_energy@rel32@lo+4
	s_addc_u32 s5, s5, detector_scores_energy@rel32@hi+12
	s_add_u32 s4, s6, s4
	s_addc_u32 s5, s7, s5
	v_mov_b32_e32 v8, s5
	v_add_co_u32_e64 v4, s[4:5], s4, v4
	v_addc_co_u32_e64 v5, s[4:5], v8, v5, s[4:5]
	global_load_dwordx2 v[4:5], v[4:5], off
	s_mov_b64 s[6:7], 0
	s_waitcnt vmcnt(0)
	v_add_co_u32_e64 v4, s[4:5], v4, v6
	v_addc_co_u32_e64 v5, s[4:5], v5, v7, s[4:5]
	global_load_dword v7, v[4:5], off
.LBB1_255:                              ;   Parent Loop BB1_19 Depth=1
                                        ; =>  This Inner Loop Header: Depth=2
	s_waitcnt vmcnt(0)
	v_add_f32_e32 v6, v7, v48
	global_atomic_cmpswap v6, v[4:5], v[6:7], off glc
	s_waitcnt vmcnt(0)
	v_cmp_eq_u32_e64 s[4:5], v6, v7
	s_or_b64 s[6:7], s[4:5], s[6:7]
	v_mov_b32_e32 v7, v6
	s_andn2_b64 exec, exec, s[6:7]
	s_cbranch_execnz .LBB1_255
.LBB1_256:                              ;   in Loop: Header=BB1_19 Depth=1
	s_or_b64 exec, exec, s[82:83]
	s_mov_b64 s[4:5], s[8:9]
                                        ; implicit-def: $vgpr8
                                        ; implicit-def: $vgpr4
	s_and_saveexec_b64 s[6:7], vcc
	s_cbranch_execz .LBB1_260
; %bb.257:                              ;   in Loop: Header=BB1_19 Depth=1
	v_cmp_gt_i32_e32 vcc, s58, v2
	v_cmp_lt_i32_e64 s[4:5], 0, v3
	s_and_b64 s[4:5], vcc, s[4:5]
	v_cmp_ge_i32_e32 vcc, s59, v3
	s_and_b64 s[82:83], s[4:5], vcc
	s_mov_b64 s[4:5], s[8:9]
                                        ; implicit-def: $vgpr4
	s_and_saveexec_b64 s[84:85], s[82:83]
	s_xor_b64 s[82:83], exec, s[84:85]
; %bb.258:                              ;   in Loop: Header=BB1_19 Depth=1
	v_add_u32_e32 v3, -1, v3
	v_mad_u64_u32 v[4:5], s[4:5], v3, s58, v[2:3]
	s_or_b64 s[4:5], s[8:9], exec
; %bb.259:                              ;   in Loop: Header=BB1_19 Depth=1
	s_or_b64 exec, exec, s[82:83]
	s_andn2_b64 s[82:83], s[8:9], exec
	s_and_b64 s[4:5], s[4:5], exec
	v_mov_b32_e32 v8, v48
	s_or_b64 s[4:5], s[82:83], s[4:5]
.LBB1_260:                              ;   in Loop: Header=BB1_19 Depth=1
	s_or_b64 exec, exec, s[6:7]
	s_andn2_b64 s[6:7], s[8:9], exec
	s_and_b64 s[4:5], s[4:5], exec
	v_mov_b32_e32 v25, 8
	s_or_b64 s[8:9], s[6:7], s[4:5]
.LBB1_261:                              ;   in Loop: Header=BB1_19 Depth=1
	s_or_b64 exec, exec, s[10:11]
	s_and_b64 s[8:9], s[8:9], exec
                                        ; implicit-def: $vgpr5
                                        ; implicit-def: $vgpr2
                                        ; implicit-def: $vgpr3
	s_andn2_saveexec_b64 s[10:11], s[30:31]
	s_cbranch_execnz .LBB1_266
.LBB1_262:                              ;   in Loop: Header=BB1_19 Depth=1
	s_or_b64 exec, exec, s[10:11]
	s_and_saveexec_b64 s[4:5], s[8:9]
	s_cbranch_execnz .LBB1_285
	s_branch .LBB1_290
.LBB1_263:                              ;   in Loop: Header=BB1_19 Depth=1
	s_andn2_saveexec_b64 s[4:5], s[4:5]
	s_cbranch_execz .LBB1_222
.LBB1_264:                              ;   in Loop: Header=BB1_19 Depth=1
	v_cmp_ne_u32_e32 vcc, 0, v24
	v_mov_b32_e32 v25, v37
	s_andn2_b64 s[6:7], s[6:7], exec
	s_and_b64 s[8:9], vcc, exec
	s_or_b64 s[6:7], s[6:7], s[8:9]
	v_pk_mov_b32 v[0:1], v[24:25], v[24:25] op_sel:[0,1]
	s_or_b64 exec, exec, s[4:5]
	s_and_saveexec_b64 s[4:5], s[6:7]
	s_cbranch_execnz .LBB1_223
	s_branch .LBB1_224
.LBB1_265:                              ;   in Loop: Header=BB1_19 Depth=1
	s_andn2_saveexec_b64 s[10:11], s[30:31]
	s_cbranch_execz .LBB1_262
.LBB1_266:                              ;   in Loop: Header=BB1_19 Depth=1
	v_cmp_ne_u32_e32 vcc, 1, v5
	s_mov_b64 s[30:31], s[8:9]
                                        ; implicit-def: $sgpr84
                                        ; implicit-def: $vgpr8
                                        ; implicit-def: $vgpr4
	s_and_saveexec_b64 s[4:5], vcc
	s_xor_b64 s[6:7], exec, s[4:5]
	s_cbranch_execz .LBB1_272
; %bb.267:                              ;   in Loop: Header=BB1_19 Depth=1
	v_cmp_lt_i32_e32 vcc, -1, v2
	s_mov_b64 s[4:5], s[8:9]
                                        ; implicit-def: $vgpr8
                                        ; implicit-def: $vgpr4
	s_and_saveexec_b64 s[30:31], vcc
	s_cbranch_execz .LBB1_271
; %bb.268:                              ;   in Loop: Header=BB1_19 Depth=1
	v_cmp_gt_i32_e32 vcc, s58, v2
	v_cmp_lt_i32_e64 s[4:5], -1, v3
	s_and_b64 s[4:5], vcc, s[4:5]
	v_cmp_gt_i32_e32 vcc, s59, v3
	s_and_b64 s[84:85], s[4:5], vcc
	s_mov_b64 s[4:5], s[8:9]
                                        ; implicit-def: $vgpr8
                                        ; implicit-def: $vgpr4
	s_and_saveexec_b64 s[82:83], s[84:85]
; %bb.269:                              ;   in Loop: Header=BB1_19 Depth=1
	v_mad_u64_u32 v[4:5], s[4:5], s58, v3, v[2:3]
	v_mul_f32_e32 v8, v49, v48
	s_or_b64 s[4:5], s[8:9], exec
; %bb.270:                              ;   in Loop: Header=BB1_19 Depth=1
	s_or_b64 exec, exec, s[82:83]
	s_andn2_b64 s[82:83], s[8:9], exec
	s_and_b64 s[4:5], s[4:5], exec
	s_or_b64 s[4:5], s[82:83], s[4:5]
.LBB1_271:                              ;   in Loop: Header=BB1_19 Depth=1
	s_or_b64 exec, exec, s[30:31]
	s_andn2_b64 s[30:31], s[8:9], exec
	s_and_b64 s[4:5], s[4:5], exec
	s_mov_b32 s84, 8
	s_or_b64 s[30:31], s[30:31], s[4:5]
                                        ; implicit-def: $vgpr2
                                        ; implicit-def: $vgpr3
.LBB1_272:                              ;   in Loop: Header=BB1_19 Depth=1
	s_or_saveexec_b64 s[82:83], s[6:7]
	v_mov_b32_e32 v25, s84
	s_xor_b64 exec, exec, s[82:83]
	s_cbranch_execz .LBB1_284
; %bb.273:                              ;   in Loop: Header=BB1_19 Depth=1
	v_mul_f32_e32 v49, 0.5, v49
	v_mul_f32_e32 v48, v49, v48
	v_cmp_lt_i32_e32 vcc, -1, v2
	s_and_saveexec_b64 s[6:7], vcc
	s_cbranch_execz .LBB1_279
; %bb.274:                              ;   in Loop: Header=BB1_19 Depth=1
	v_cmp_gt_i32_e32 vcc, s58, v2
	v_cmp_lt_i32_e64 s[4:5], -1, v3
	s_and_b64 s[4:5], vcc, s[4:5]
	v_cmp_gt_i32_e32 vcc, s59, v3
	s_and_b64 s[4:5], s[4:5], vcc
	s_and_b64 exec, exec, s[4:5]
	s_cbranch_execz .LBB1_279
; %bb.275:                              ;   in Loop: Header=BB1_19 Depth=1
	s_lshl_b64 s[4:5], s[28:29], 5
	s_getpc_b64 s[84:85]
	s_add_u32 s84, s84, detector_scores_count@rel32@lo+4
	s_addc_u32 s85, s85, detector_scores_count@rel32@hi+12
	s_add_u32 s84, s4, s84
	v_lshlrev_b64 v[4:5], 3, v[0:1]
	s_addc_u32 s85, s5, s85
	v_mov_b32_e32 v7, s85
	v_add_co_u32_e32 v6, vcc, s84, v4
	v_addc_co_u32_e32 v7, vcc, v7, v5, vcc
	global_load_dwordx2 v[8:9], v[6:7], off
	v_mad_u64_u32 v[6:7], s[84:85], s58, v3, v[2:3]
	v_mov_b32_e32 v7, v37
	v_lshlrev_b64 v[6:7], 2, v[6:7]
	s_mov_b64 s[84:85], 0
	s_waitcnt vmcnt(0)
	v_add_co_u32_e32 v8, vcc, v8, v6
	v_addc_co_u32_e32 v9, vcc, v9, v7, vcc
	global_load_dword v11, v[8:9], off
.LBB1_276:                              ;   Parent Loop BB1_19 Depth=1
                                        ; =>  This Inner Loop Header: Depth=2
	s_waitcnt vmcnt(0)
	v_add_f32_e32 v10, v11, v49
	global_atomic_cmpswap v10, v[8:9], v[10:11], off glc
	s_waitcnt vmcnt(0)
	v_cmp_eq_u32_e32 vcc, v10, v11
	s_or_b64 s[84:85], vcc, s[84:85]
	v_mov_b32_e32 v11, v10
	s_andn2_b64 exec, exec, s[84:85]
	s_cbranch_execnz .LBB1_276
; %bb.277:                              ;   in Loop: Header=BB1_19 Depth=1
	s_or_b64 exec, exec, s[84:85]
	s_getpc_b64 s[84:85]
	s_add_u32 s84, s84, detector_scores_energy@rel32@lo+4
	s_addc_u32 s85, s85, detector_scores_energy@rel32@hi+12
	s_add_u32 s4, s4, s84
	s_addc_u32 s5, s5, s85
	v_mov_b32_e32 v8, s5
	v_add_co_u32_e32 v4, vcc, s4, v4
	v_addc_co_u32_e32 v5, vcc, v8, v5, vcc
	global_load_dwordx2 v[4:5], v[4:5], off
	s_mov_b64 s[4:5], 0
	s_waitcnt vmcnt(0)
	v_add_co_u32_e32 v4, vcc, v4, v6
	v_addc_co_u32_e32 v5, vcc, v5, v7, vcc
	global_load_dword v7, v[4:5], off
.LBB1_278:                              ;   Parent Loop BB1_19 Depth=1
                                        ; =>  This Inner Loop Header: Depth=2
	s_waitcnt vmcnt(0)
	v_add_f32_e32 v6, v7, v48
	global_atomic_cmpswap v6, v[4:5], v[6:7], off glc
	s_waitcnt vmcnt(0)
	v_cmp_eq_u32_e32 vcc, v6, v7
	s_or_b64 s[4:5], vcc, s[4:5]
	v_mov_b32_e32 v7, v6
	s_andn2_b64 exec, exec, s[4:5]
	s_cbranch_execnz .LBB1_278
.LBB1_279:                              ;   in Loop: Header=BB1_19 Depth=1
	s_or_b64 exec, exec, s[6:7]
	v_cmp_lt_i32_e32 vcc, 0, v2
	s_mov_b64 s[4:5], s[30:31]
                                        ; implicit-def: $vgpr8
                                        ; implicit-def: $vgpr4
	s_and_saveexec_b64 s[84:85], vcc
	s_cbranch_execz .LBB1_283
; %bb.280:                              ;   in Loop: Header=BB1_19 Depth=1
	v_cmp_lt_i32_e64 s[4:5], -1, v3
	v_cmp_gt_i32_e64 s[6:7], s59, v3
	v_cmp_ge_i32_e32 vcc, s58, v2
	s_and_b64 s[4:5], s[4:5], s[6:7]
	s_and_b64 vcc, s[4:5], vcc
	s_mov_b64 s[4:5], s[30:31]
                                        ; implicit-def: $vgpr4
	s_and_saveexec_b64 s[6:7], vcc
; %bb.281:                              ;   in Loop: Header=BB1_19 Depth=1
	v_mul_lo_u32 v3, s58, v3
	v_add3_u32 v4, v2, v3, -1
	s_or_b64 s[4:5], s[30:31], exec
; %bb.282:                              ;   in Loop: Header=BB1_19 Depth=1
	s_or_b64 exec, exec, s[6:7]
	s_andn2_b64 s[6:7], s[30:31], exec
	s_and_b64 s[4:5], s[4:5], exec
	v_mov_b32_e32 v8, v48
	s_or_b64 s[4:5], s[6:7], s[4:5]
.LBB1_283:                              ;   in Loop: Header=BB1_19 Depth=1
	s_or_b64 exec, exec, s[84:85]
	s_andn2_b64 s[6:7], s[30:31], exec
	s_and_b64 s[4:5], s[4:5], exec
	v_mov_b32_e32 v25, 8
	s_or_b64 s[30:31], s[6:7], s[4:5]
.LBB1_284:                              ;   in Loop: Header=BB1_19 Depth=1
	s_or_b64 exec, exec, s[82:83]
	s_andn2_b64 s[4:5], s[8:9], exec
	s_and_b64 s[6:7], s[30:31], exec
	s_or_b64 s[8:9], s[4:5], s[6:7]
	s_or_b64 exec, exec, s[10:11]
	s_and_saveexec_b64 s[4:5], s[8:9]
	s_cbranch_execz .LBB1_290
.LBB1_285:                              ;   in Loop: Header=BB1_19 Depth=1
	s_lshl_b64 s[6:7], s[28:29], 5
	s_getpc_b64 s[8:9]
	s_add_u32 s8, s8, detector_scores_count@rel32@lo+4
	s_addc_u32 s9, s9, detector_scores_count@rel32@hi+12
	s_add_u32 s8, s6, s8
	v_lshlrev_b64 v[0:1], 3, v[0:1]
	s_addc_u32 s9, s7, s9
	v_mov_b32_e32 v3, s9
	v_add_co_u32_e32 v2, vcc, s8, v0
	v_addc_co_u32_e32 v3, vcc, v3, v1, vcc
	global_load_dwordx2 v[6:7], v[2:3], off
	v_mov_b32_e32 v5, v37
	v_lshlrev_b64 v[2:3], 2, v[4:5]
	s_mov_b64 s[8:9], 0
	s_waitcnt vmcnt(0)
	v_add_co_u32_e32 v4, vcc, v6, v2
	v_addc_co_u32_e32 v5, vcc, v7, v3, vcc
	global_load_dword v7, v[4:5], off
.LBB1_286:                              ;   Parent Loop BB1_19 Depth=1
                                        ; =>  This Inner Loop Header: Depth=2
	s_waitcnt vmcnt(0)
	v_add_f32_e32 v6, v7, v49
	global_atomic_cmpswap v6, v[4:5], v[6:7], off glc
	s_waitcnt vmcnt(0)
	v_cmp_eq_u32_e32 vcc, v6, v7
	s_or_b64 s[8:9], vcc, s[8:9]
	v_mov_b32_e32 v7, v6
	s_andn2_b64 exec, exec, s[8:9]
	s_cbranch_execnz .LBB1_286
; %bb.287:                              ;   in Loop: Header=BB1_19 Depth=1
	s_or_b64 exec, exec, s[8:9]
	s_getpc_b64 s[8:9]
	s_add_u32 s8, s8, detector_scores_energy@rel32@lo+4
	s_addc_u32 s9, s9, detector_scores_energy@rel32@hi+12
	s_add_u32 s6, s6, s8
	s_addc_u32 s7, s7, s9
	v_mov_b32_e32 v4, s7
	v_add_co_u32_e32 v0, vcc, s6, v0
	v_addc_co_u32_e32 v1, vcc, v4, v1, vcc
	global_load_dwordx2 v[0:1], v[0:1], off
	s_mov_b64 s[6:7], 0
	s_waitcnt vmcnt(0)
	v_add_co_u32_e32 v0, vcc, v0, v2
	v_addc_co_u32_e32 v1, vcc, v1, v3, vcc
	global_load_dword v3, v[0:1], off
.LBB1_288:                              ;   Parent Loop BB1_19 Depth=1
                                        ; =>  This Inner Loop Header: Depth=2
	s_waitcnt vmcnt(0)
	v_add_f32_e32 v2, v3, v8
	global_atomic_cmpswap v2, v[0:1], v[2:3], off glc
	s_waitcnt vmcnt(0)
	v_cmp_eq_u32_e32 vcc, v2, v3
	s_or_b64 s[6:7], vcc, s[6:7]
	v_mov_b32_e32 v3, v2
	s_andn2_b64 exec, exec, s[6:7]
	s_cbranch_execnz .LBB1_288
; %bb.289:                              ;   in Loop: Header=BB1_19 Depth=1
	s_or_b64 exec, exec, s[6:7]
	v_mov_b32_e32 v25, 8
.LBB1_290:                              ;   in Loop: Header=BB1_19 Depth=1
	s_or_b64 exec, exec, s[4:5]
.LBB1_291:                              ;   in Loop: Header=BB1_19 Depth=1
	s_or_b64 exec, exec, s[22:23]
.LBB1_292:                              ;   in Loop: Header=BB1_19 Depth=1
	s_or_b64 exec, exec, s[20:21]
.LBB1_293:                              ;   in Loop: Header=BB1_19 Depth=1
	s_or_b64 exec, exec, s[14:15]
	v_cndmask_b32_e64 v0, 0, 1, s[12:13]
	v_cmp_ne_u32_e32 vcc, 0, v0
	s_and_saveexec_b64 s[4:5], s[18:19]
	s_cbranch_execz .LBB1_295
; %bb.294:                              ;   in Loop: Header=BB1_19 Depth=1
	buffer_load_dword v2, off, s[0:3], 0 offset:92 ; 4-byte Folded Reload
	buffer_load_dword v3, off, s[0:3], 0 offset:96 ; 4-byte Folded Reload
	s_bcnt1_i32_b32 s6, vcc_lo
	s_waitcnt vmcnt(0)
	flat_load_dword v0, v[2:3] glc
	s_waitcnt vmcnt(0) lgkmcnt(0)
	v_add_u32_e32 v0, s6, v0
	flat_store_dword v[2:3], v0
	s_waitcnt vmcnt(0)
	flat_load_dword v0, v[58:59] glc
	s_waitcnt vmcnt(0) lgkmcnt(0)
	v_add_u32_e32 v0, 1, v0
	flat_store_dword v[58:59], v0
	s_waitcnt vmcnt(0)
.LBB1_295:                              ;   in Loop: Header=BB1_19 Depth=1
	s_or_b64 exec, exec, s[4:5]
.LBB1_296:                              ;   in Loop: Header=BB1_19 Depth=1
	v_or_b32_e32 v26, v14, v30
	v_mov_b32_e32 v0, v26
	;;#ASMSTART
	;;#ASMEND
	v_cmp_ne_u32_e32 vcc, 0, v0
	s_cmp_eq_u64 vcc, exec
	s_cbranch_scc1 .LBB1_396
; %bb.297:                              ;   in Loop: Header=BB1_19 Depth=1
	v_mov_b32_e32 v0, 4
	v_cmp_eq_u16_sdwa s[20:21], v25, v0 src0_sel:BYTE_0 src1_sel:DWORD
	v_cndmask_b32_e64 v30, 0, 1, s[20:21]
	v_mov_b32_e32 v0, v30
	;;#ASMSTART
	;;#ASMEND
	v_cmp_ne_u32_e32 vcc, 0, v0
	s_cbranch_vccz .LBB1_335
; %bb.298:                              ;   in Loop: Header=BB1_19 Depth=1
	v_div_scale_f32 v0, s[4:5], s97, s97, v48
	v_rcp_f32_e32 v1, v0
	v_div_scale_f32 v2, vcc, v48, s97, v48
	s_xor_b64 s[82:83], s[20:21], -1
	v_fma_f32 v3, -v0, v1, 1.0
	v_fmac_f32_e32 v1, v3, v1
	v_mul_f32_e32 v3, v2, v1
	v_fma_f32 v4, -v0, v3, v2
	v_fmac_f32_e32 v3, v4, v1
	v_fma_f32 v0, -v0, v3, v2
	v_div_fmas_f32 v0, v0, v1, v3
	v_div_fixup_f32 v29, v0, s97, v48
	v_fma_f32 v0, v29, 2.0, 1.0
	v_div_scale_f32 v1, s[4:5], v0, v0, 1.0
	v_rcp_f32_e32 v2, v1
	v_cmp_nlt_f32_e64 s[22:23], 2.0, v29
	v_mov_b32_e32 v28, 0
	v_mul_f32_e32 v88, v0, v0
	v_fma_f32 v3, -v1, v2, 1.0
	v_fmac_f32_e32 v2, v3, v2
	v_div_scale_f32 v3, vcc, 1.0, v0, 1.0
	v_mul_f32_e32 v4, v3, v2
	v_fma_f32 v5, -v1, v4, v3
	v_fmac_f32_e32 v4, v5, v2
	v_fma_f32 v1, -v1, v4, v3
	v_div_fmas_f32 v1, v1, v2, v4
	v_cmp_gt_f32_e32 vcc, s79, v0
	v_div_fixup_f32 v35, v1, v0, 1.0
	v_cndmask_b32_e32 v1, 1.0, v84, vcc
	v_mul_f32_e32 v1, v0, v1
	v_log_f32_e32 v1, v1
	v_sub_f32_e32 v66, 1.0, v35
	v_add_f32_e32 v67, v0, v35
	v_mov_b32_e32 v89, 0
	v_mul_f32_e32 v2, 0x3f317217, v1
	v_fma_f32 v3, v1, s68, -v2
	v_fmac_f32_e32 v3, 0x3377d1cf, v1
	v_add_f32_e32 v2, v2, v3
	v_cmp_lt_f32_e64 s[4:5], |v1|, s69
	v_cndmask_b32_e64 v1, v1, v2, s[4:5]
	v_cndmask_b32_e32 v2, 0, v85, vcc
	v_sub_f32_e32 v68, v1, v2
	v_add_f32_e32 v1, 1.0, v0
	v_mul_f32_e32 v1, v29, v1
	v_mul_f32_e32 v1, v35, v1
	v_fma_f32 v69, v35, v1, v68
	v_mov_b32_e32 v90, 0
	s_branch .LBB1_302
.LBB1_299:                              ;   in Loop: Header=BB1_302 Depth=2
	s_or_b64 exec, exec, s[4:5]
	v_mul_f32_e32 v28, v35, v1
	v_fma_f32 v1, -v35, v1, 1.0
	v_mul_f32_e32 v2, v29, v28
	v_div_scale_f32 v3, s[4:5], v2, v2, v1
	v_rcp_f32_e32 v4, v3
	s_andn2_b64 s[4:5], s[8:9], exec
	v_fma_f32 v5, -v3, v4, 1.0
	v_fmac_f32_e32 v4, v5, v4
	v_div_scale_f32 v5, vcc, v1, v2, v1
	v_mul_f32_e32 v6, v5, v4
	v_fma_f32 v7, -v3, v6, v5
	v_fmac_f32_e32 v6, v7, v4
	v_fma_f32 v3, -v3, v6, v5
	v_div_fmas_f32 v3, v3, v4, v6
	v_div_fixup_f32 v89, v3, v2, v1
	v_sub_f32_e32 v1, 2.0, v89
	v_mul_f32_e32 v1, v89, v1
	v_max_f32_e32 v90, 0, v1
	v_fma_f32 v1, v28, v28, 1.0
	v_fma_f32 v2, -v28, v90, v1
	s_waitcnt lgkmcnt(0)
	v_mul_f32_e32 v0, v0, v1
	v_cmp_lt_f32_e32 vcc, v0, v2
	s_and_b64 s[8:9], vcc, exec
	s_or_b64 s[8:9], s[4:5], s[8:9]
.LBB1_300:                              ;   in Loop: Header=BB1_302 Depth=2
	s_or_b64 exec, exec, s[10:11]
	s_orn2_b64 s[82:83], s[8:9], exec
.LBB1_301:                              ;   in Loop: Header=BB1_302 Depth=2
	s_or_b64 exec, exec, s[6:7]
	v_cndmask_b32_e64 v0, 0, 1, s[82:83]
	;;#ASMSTART
	;;#ASMEND
	v_cmp_ne_u32_e32 vcc, 0, v0
	s_cmp_lg_u64 vcc, exec
	s_cbranch_scc0 .LBB1_322
.LBB1_302:                              ;   Parent Loop BB1_19 Depth=1
                                        ; =>  This Inner Loop Header: Depth=2
	flat_load_ubyte v0, v[52:53] glc
	s_waitcnt vmcnt(0) lgkmcnt(0)
	v_cmp_lt_u32_e32 vcc, 1, v0
	v_add_u32_e32 v0, 1, v0
	s_and_saveexec_b64 s[84:85], vcc
	s_cbranch_execz .LBB1_304
; %bb.303:                              ;   in Loop: Header=BB1_302 Depth=2
	s_add_u32 s8, s16, 8
	s_addc_u32 s9, s17, 0
	s_getpc_b64 s[4:5]
	s_add_u32 s4, s4, _Z17MT_generate_arrayv@rel32@lo+4
	s_addc_u32 s5, s5, _Z17MT_generate_arrayv@rel32@hi+12
	s_swappc_b64 s[30:31], s[4:5]
	v_mov_b32_e32 v0, 0
.LBB1_304:                              ;   in Loop: Header=BB1_302 Depth=2
	s_or_b64 exec, exec, s[84:85]
	s_and_saveexec_b64 s[4:5], s[18:19]
	s_cbranch_execz .LBB1_306
; %bb.305:                              ;   in Loop: Header=BB1_302 Depth=2
	flat_store_byte v[52:53], v0
	s_waitcnt vmcnt(0)
.LBB1_306:                              ;   in Loop: Header=BB1_302 Depth=2
	s_or_b64 exec, exec, s[4:5]
	v_lshl_or_b32 v0, v0, 7, v79
	v_mad_u32_u24 v0, v78, s78, v0
	ds_read_b32 v92, v0 offset:6464
	flat_load_ubyte v0, v[52:53] glc
	s_waitcnt vmcnt(0) lgkmcnt(0)
	v_cmp_lt_u32_e32 vcc, 1, v0
	v_add_u32_e32 v0, 1, v0
	s_and_saveexec_b64 s[84:85], vcc
	s_cbranch_execz .LBB1_308
; %bb.307:                              ;   in Loop: Header=BB1_302 Depth=2
	s_add_u32 s8, s16, 8
	s_addc_u32 s9, s17, 0
	s_getpc_b64 s[4:5]
	s_add_u32 s4, s4, _Z17MT_generate_arrayv@rel32@lo+4
	s_addc_u32 s5, s5, _Z17MT_generate_arrayv@rel32@hi+12
	s_swappc_b64 s[30:31], s[4:5]
	v_mov_b32_e32 v0, 0
.LBB1_308:                              ;   in Loop: Header=BB1_302 Depth=2
	s_or_b64 exec, exec, s[84:85]
	s_and_saveexec_b64 s[4:5], s[18:19]
	s_cbranch_execz .LBB1_310
; %bb.309:                              ;   in Loop: Header=BB1_302 Depth=2
	flat_store_byte v[52:53], v0
	s_waitcnt vmcnt(0)
.LBB1_310:                              ;   in Loop: Header=BB1_302 Depth=2
	s_or_b64 exec, exec, s[4:5]
	v_lshl_or_b32 v0, v0, 7, v79
	v_mad_u32_u24 v0, v78, s78, v0
	ds_read_b32 v91, v0 offset:6464
	flat_load_ubyte v0, v[52:53] glc
	s_waitcnt vmcnt(0) lgkmcnt(0)
	v_cmp_lt_u32_e32 vcc, 1, v0
	v_add_u32_e32 v0, 1, v0
	s_and_saveexec_b64 s[84:85], vcc
	s_cbranch_execz .LBB1_312
; %bb.311:                              ;   in Loop: Header=BB1_302 Depth=2
	s_add_u32 s8, s16, 8
	s_addc_u32 s9, s17, 0
	s_getpc_b64 s[4:5]
	s_add_u32 s4, s4, _Z17MT_generate_arrayv@rel32@lo+4
	s_addc_u32 s5, s5, _Z17MT_generate_arrayv@rel32@hi+12
	s_swappc_b64 s[30:31], s[4:5]
	v_mov_b32_e32 v0, 0
.LBB1_312:                              ;   in Loop: Header=BB1_302 Depth=2
	s_or_b64 exec, exec, s[84:85]
	s_and_saveexec_b64 s[4:5], s[18:19]
	s_cbranch_execz .LBB1_314
; %bb.313:                              ;   in Loop: Header=BB1_302 Depth=2
	flat_store_byte v[52:53], v0
	s_waitcnt vmcnt(0)
.LBB1_314:                              ;   in Loop: Header=BB1_302 Depth=2
	s_or_b64 exec, exec, s[4:5]
	s_xor_b64 s[4:5], s[82:83], -1
	s_mov_b64 s[82:83], -1
	s_and_saveexec_b64 s[6:7], s[4:5]
	s_cbranch_execz .LBB1_301
; %bb.315:                              ;   in Loop: Header=BB1_302 Depth=2
                                        ; implicit-def: $sgpr8_sgpr9
                                        ; implicit-def: $vgpr90
                                        ; implicit-def: $vgpr89
                                        ; implicit-def: $vgpr28
	s_and_saveexec_b64 s[4:5], s[22:23]
	s_xor_b64 s[4:5], exec, s[4:5]
	s_cbranch_execz .LBB1_317
; %bb.316:                              ;   in Loop: Header=BB1_302 Depth=2
	v_fma_f32 v28, v66, v92, v35
	v_sub_f32_e32 v0, 1.0, v28
	v_mul_f32_e32 v1, v29, v28
	v_div_scale_f32 v2, s[8:9], v1, v1, v0
	v_rcp_f32_e32 v3, v2
                                        ; implicit-def: $vgpr92
	v_fma_f32 v4, -v2, v3, 1.0
	v_fmac_f32_e32 v3, v4, v3
	v_div_scale_f32 v4, vcc, v0, v1, v0
	v_mul_f32_e32 v5, v4, v3
	v_fma_f32 v6, -v2, v5, v4
	v_fmac_f32_e32 v5, v6, v3
	v_fma_f32 v2, -v2, v5, v4
	v_div_fmas_f32 v2, v2, v3, v5
	v_div_fixup_f32 v89, v2, v1, v0
	v_sub_f32_e32 v0, 2.0, v89
	v_mul_f32_e32 v0, v89, v0
	v_max_f32_e32 v90, 0, v0
	v_fma_f32 v0, v28, v28, 1.0
	v_mul_f32_e32 v1, v28, v91
	v_fma_f32 v0, -v28, v90, v0
	v_mul_f32_e32 v1, v67, v1
	v_cmp_lt_f32_e32 vcc, v1, v0
	s_and_b64 s[8:9], vcc, exec
                                        ; implicit-def: $vgpr91
                                        ; implicit-def: $vgpr0
.LBB1_317:                              ;   in Loop: Header=BB1_302 Depth=2
	s_andn2_saveexec_b64 s[10:11], s[4:5]
	s_cbranch_execz .LBB1_300
; %bb.318:                              ;   in Loop: Header=BB1_302 Depth=2
	v_lshl_or_b32 v0, v0, 7, v79
	v_mad_u32_u24 v0, v78, s78, v0
	ds_read_b32 v0, v0 offset:6464
	v_mul_f32_e32 v1, v69, v92
	v_cmp_nlt_f32_e32 vcc, v1, v68
                                        ; implicit-def: $vgpr1
	s_and_saveexec_b64 s[4:5], vcc
	s_xor_b64 s[12:13], exec, s[4:5]
	s_cbranch_execz .LBB1_320
; %bb.319:                              ;   in Loop: Header=BB1_302 Depth=2
	v_fma_f32 v1, v88, v91, 1.0
	v_sub_f32_e32 v1, v1, v91
	v_mul_f32_e32 v2, 0x4f800000, v1
	v_cmp_gt_f32_e32 vcc, s96, v1
	v_cndmask_b32_e32 v1, v1, v2, vcc
	v_sqrt_f32_e32 v2, v1
                                        ; implicit-def: $vgpr91
	v_add_u32_e32 v3, -1, v2
	v_fma_f32 v5, -v3, v2, v1
	v_add_u32_e32 v4, 1, v2
	v_cmp_ge_f32_e64 s[4:5], 0, v5
	v_cndmask_b32_e64 v3, v2, v3, s[4:5]
	v_fma_f32 v2, -v4, v2, v1
	v_cmp_lt_f32_e64 s[4:5], 0, v2
	v_cndmask_b32_e64 v2, v3, v4, s[4:5]
	v_mul_f32_e32 v3, 0x37800000, v2
	v_cndmask_b32_e32 v2, v2, v3, vcc
	v_cmp_class_f32_e32 vcc, v1, v82
	v_cndmask_b32_e32 v1, v2, v1, vcc
.LBB1_320:                              ;   in Loop: Header=BB1_302 Depth=2
	s_andn2_saveexec_b64 s[4:5], s[12:13]
	s_cbranch_execz .LBB1_299
; %bb.321:                              ;   in Loop: Header=BB1_302 Depth=2
	v_mul_f32_e32 v1, v68, v91
	v_mul_f32_e32 v2, 0x3fb8aa3b, v1
	v_fma_f32 v3, v1, s64, -v2
	v_rndne_f32_e32 v4, v2
	v_fmac_f32_e32 v3, 0x32a5705f, v1
	v_sub_f32_e32 v2, v2, v4
	v_add_f32_e32 v2, v2, v3
	v_cvt_i32_f32_e32 v3, v4
	v_exp_f32_e32 v2, v2
	v_cmp_ngt_f32_e32 vcc, s65, v1
	v_ldexp_f32 v2, v2, v3
	v_cndmask_b32_e32 v2, 0, v2, vcc
	v_cmp_nlt_f32_e32 vcc, s86, v1
	v_cndmask_b32_e32 v1, v87, v2, vcc
	s_branch .LBB1_299
.LBB1_322:                              ;   in Loop: Header=BB1_19 Depth=1
	flat_load_ubyte v0, v[52:53] glc
	s_waitcnt vmcnt(0) lgkmcnt(0)
	v_cmp_lt_u32_e32 vcc, 1, v0
	v_add_u32_e32 v0, 1, v0
	s_and_saveexec_b64 s[22:23], vcc
	s_cbranch_execz .LBB1_325
; %bb.323:                              ;   in Loop: Header=BB1_19 Depth=1
	s_add_u32 s8, s16, 8
	s_addc_u32 s9, s17, 0
	s_getpc_b64 s[4:5]
	s_add_u32 s4, s4, _Z17MT_generate_arrayv@rel32@lo+4
	s_addc_u32 s5, s5, _Z17MT_generate_arrayv@rel32@hi+12
	s_swappc_b64 s[30:31], s[4:5]
	v_mov_b32_e32 v0, 0
	s_or_b64 exec, exec, s[22:23]
	s_and_saveexec_b64 s[4:5], s[18:19]
	s_cbranch_execnz .LBB1_326
.LBB1_324:                              ;   in Loop: Header=BB1_19 Depth=1
	s_or_b64 exec, exec, s[4:5]
	s_and_saveexec_b64 s[6:7], s[20:21]
	s_cbranch_execnz .LBB1_327
	s_branch .LBB1_332
.LBB1_325:                              ;   in Loop: Header=BB1_19 Depth=1
	s_or_b64 exec, exec, s[22:23]
	s_and_saveexec_b64 s[4:5], s[18:19]
	s_cbranch_execz .LBB1_324
.LBB1_326:                              ;   in Loop: Header=BB1_19 Depth=1
	flat_store_byte v[52:53], v0
	s_waitcnt vmcnt(0)
	s_or_b64 exec, exec, s[4:5]
	s_and_saveexec_b64 s[6:7], s[20:21]
	s_cbranch_execz .LBB1_332
.LBB1_327:                              ;   in Loop: Header=BB1_19 Depth=1
	v_mul_f32_e32 v1, 0x4f800000, v90
	v_cmp_gt_f32_e32 vcc, s96, v90
	v_cndmask_b32_e32 v1, v90, v1, vcc
	v_sqrt_f32_e32 v2, v1
	v_lshl_or_b32 v0, v0, 7, v79
	v_mad_u32_u24 v0, v78, s78, v0
	ds_read_b32 v0, v0 offset:6464
	v_add_u32_e32 v3, -1, v2
	v_fma_f32 v5, -v3, v2, v1
	v_add_u32_e32 v4, 1, v2
	v_cmp_ge_f32_e64 s[4:5], 0, v5
	v_cndmask_b32_e64 v3, v2, v3, s[4:5]
	v_fma_f32 v2, -v4, v2, v1
	v_cmp_lt_f32_e64 s[4:5], 0, v2
	v_cndmask_b32_e64 v2, v3, v4, s[4:5]
	v_mul_f32_e32 v3, 0x37800000, v2
	s_waitcnt lgkmcnt(0)
	v_mul_f32_e32 v0, 0x40c90fdb, v0
	v_cndmask_b32_e32 v2, v2, v3, vcc
	v_cmp_class_f32_e32 vcc, v1, v82
	v_mul_f32_e32 v0, 0.15915494, v0
	v_cndmask_b32_e32 v35, v2, v1, vcc
	v_sin_f32_e32 v2, v0
	v_cos_f32_e32 v3, v0
	v_pk_mul_f32 v[0:1], v[32:33], v[32:33]
	v_add_f32_e32 v0, v1, v0
	s_mov_b32 s4, 0x1e3ce508
	v_sub_f32_e32 v4, 1.0, v89
	v_cmp_ngt_f32_e32 vcc, s4, v0
	v_mul_f32_e32 v1, v35, v2
	s_and_saveexec_b64 s[4:5], vcc
	s_xor_b64 s[8:9], exec, s[4:5]
	s_cbranch_execz .LBB1_329
; %bb.328:                              ;   in Loop: Header=BB1_19 Depth=1
	v_mul_f32_e32 v2, 0x4f800000, v0
	v_cmp_gt_f32_e32 vcc, s96, v0
	v_cndmask_b32_e32 v0, v0, v2, vcc
	v_sqrt_f32_e32 v2, v0
	v_add_u32_e32 v5, -1, v2
	v_fma_f32 v7, -v5, v2, v0
	v_add_u32_e32 v6, 1, v2
	v_cmp_ge_f32_e64 s[4:5], 0, v7
	v_cndmask_b32_e64 v5, v2, v5, s[4:5]
	v_fma_f32 v2, -v6, v2, v0
	v_cmp_lt_f32_e64 s[4:5], 0, v2
	v_cndmask_b32_e64 v2, v5, v6, s[4:5]
	v_mul_f32_e32 v5, 0x37800000, v2
	v_cndmask_b32_e32 v2, v2, v5, vcc
	v_cmp_class_f32_e32 vcc, v0, v82
	v_cndmask_b32_e32 v0, v2, v0, vcc
	v_div_scale_f32 v2, s[4:5], v0, v0, v33
	v_rcp_f32_e32 v5, v2
	v_fma_f32 v6, -v2, v5, 1.0
	v_fmac_f32_e32 v5, v6, v5
	v_div_scale_f32 v6, vcc, v33, v0, v33
	v_mul_f32_e32 v7, v6, v5
	v_fma_f32 v8, -v2, v7, v6
	v_fmac_f32_e32 v7, v8, v5
	v_fma_f32 v2, -v2, v7, v6
	v_div_scale_f32 v6, s[4:5], v0, v0, v32
	v_rcp_f32_e32 v8, v6
	v_div_fmas_f32 v2, v2, v5, v7
	v_div_fixup_f32 v2, v2, v0, v33
	v_fma_f32 v5, -v6, v8, 1.0
	v_fmac_f32_e32 v8, v5, v8
	v_div_scale_f32 v5, vcc, v32, v0, v32
	v_mul_f32_e32 v7, v5, v8
	v_fma_f32 v9, -v6, v7, v5
	v_fmac_f32_e32 v7, v9, v8
	v_fma_f32 v5, -v6, v7, v5
	v_div_fmas_f32 v5, v5, v8, v7
	v_div_fixup_f32 v5, v5, v0, v32
	v_mul_f32_e32 v6, v34, v5
	v_mul_f32_e32 v7, v2, v1
	v_pk_mul_f32 v[2:3], v[34:35], v[2:3]
	v_fma_f32 v6, v6, v3, -v7
	v_mul_f32_e32 v7, v2, v3
	v_fmac_f32_e32 v7, v5, v1
	v_fmac_f32_e32 v6, v32, v4
	;; [unrolled: 1-line block ×3, first 2 shown]
	v_mul_f32_e32 v0, v0, v3
	v_fma_f32 v34, v34, v4, -v0
	v_pk_mov_b32 v[32:33], v[6:7], v[6:7] op_sel:[0,1]
                                        ; implicit-def: $vgpr3
                                        ; implicit-def: $vgpr4
                                        ; implicit-def: $vgpr1
.LBB1_329:                              ;   in Loop: Header=BB1_19 Depth=1
	s_andn2_saveexec_b64 s[4:5], s[8:9]
; %bb.330:                              ;   in Loop: Header=BB1_19 Depth=1
	v_mul_f32_e32 v0, v35, v3
	v_mul_f32_e32 v34, v34, v4
	v_pk_mov_b32 v[32:33], v[0:1], v[0:1] op_sel:[0,1]
; %bb.331:                              ;   in Loop: Header=BB1_19 Depth=1
	s_or_b64 exec, exec, s[4:5]
.LBB1_332:                              ;   in Loop: Header=BB1_19 Depth=1
	s_or_b64 exec, exec, s[6:7]
	v_cndmask_b32_e64 v0, 0, 1, s[20:21]
	v_cmp_ne_u32_e32 vcc, 0, v0
	s_and_saveexec_b64 s[4:5], s[18:19]
	s_cbranch_execz .LBB1_334
; %bb.333:                              ;   in Loop: Header=BB1_19 Depth=1
	buffer_load_dword v2, off, s[0:3], 0 offset:100 ; 4-byte Folded Reload
	buffer_load_dword v3, off, s[0:3], 0 offset:104 ; 4-byte Folded Reload
	s_bcnt1_i32_b32 s6, vcc_lo
	s_waitcnt vmcnt(0)
	flat_load_dword v0, v[2:3] glc
	s_waitcnt vmcnt(0) lgkmcnt(0)
	v_add_u32_e32 v0, s6, v0
	flat_store_dword v[2:3], v0
	s_waitcnt vmcnt(0)
	flat_load_dword v0, v[58:59] glc
	s_waitcnt vmcnt(0) lgkmcnt(0)
	v_add_u32_e32 v0, 1, v0
	flat_store_dword v[58:59], v0
	s_waitcnt vmcnt(0)
.LBB1_334:                              ;   in Loop: Header=BB1_19 Depth=1
	s_or_b64 exec, exec, s[4:5]
	v_mul_f32_e32 v0, v48, v28
	v_cndmask_b32_e64 v25, v25, 2, s[20:21]
	v_cndmask_b32_e64 v48, v48, v0, s[20:21]
	v_add_u32_e32 v24, v24, v30
.LBB1_335:                              ;   in Loop: Header=BB1_19 Depth=1
	v_or_b32_e32 v0, v26, v30
	v_mov_b32_e32 v1, v0
	;;#ASMSTART
	;;#ASMEND
	v_cmp_ne_u32_e32 vcc, 0, v1
	s_cmp_eq_u64 vcc, exec
	s_cbranch_scc1 .LBB1_396
; %bb.336:                              ;   in Loop: Header=BB1_19 Depth=1
	v_mov_b32_e32 v1, 5
	v_cmp_eq_u16_sdwa s[4:5], v25, v1 src0_sel:BYTE_0 src1_sel:DWORD
	v_cndmask_b32_e64 v30, 0, 1, s[4:5]
	v_mov_b32_e32 v1, v30
	;;#ASMSTART
	;;#ASMEND
	v_cmp_ne_u32_e32 vcc, 0, v1
	s_cbranch_vccz .LBB1_340
; %bb.337:                              ;   in Loop: Header=BB1_19 Depth=1
	v_cndmask_b32_e64 v1, 0, 1, s[4:5]
	v_cmp_ne_u32_e32 vcc, 0, v1
	s_and_saveexec_b64 s[6:7], s[18:19]
	s_cbranch_execz .LBB1_339
; %bb.338:                              ;   in Loop: Header=BB1_19 Depth=1
	buffer_load_dword v2, off, s[0:3], 0 offset:140 ; 4-byte Folded Reload
	buffer_load_dword v3, off, s[0:3], 0 offset:144 ; 4-byte Folded Reload
	s_bcnt1_i32_b32 s8, vcc_lo
	s_waitcnt vmcnt(0)
	flat_load_dword v1, v[2:3] glc
	s_waitcnt vmcnt(0) lgkmcnt(0)
	v_add_u32_e32 v1, s8, v1
	flat_store_dword v[2:3], v1
	s_waitcnt vmcnt(0)
	flat_load_dword v1, v[58:59] glc
	s_waitcnt vmcnt(0) lgkmcnt(0)
	v_add_u32_e32 v1, 1, v1
	flat_store_dword v[58:59], v1
	s_waitcnt vmcnt(0)
.LBB1_339:                              ;   in Loop: Header=BB1_19 Depth=1
	s_or_b64 exec, exec, s[6:7]
	v_cndmask_b32_e64 v25, v25, 8, s[4:5]
.LBB1_340:                              ;   in Loop: Header=BB1_19 Depth=1
	v_or_b32_e32 v66, v0, v30
	v_mov_b32_e32 v0, v66
	;;#ASMSTART
	;;#ASMEND
	v_cmp_ne_u32_e32 vcc, 0, v0
	s_cmp_eq_u64 vcc, exec
	s_cbranch_scc1 .LBB1_396
; %bb.341:                              ;   in Loop: Header=BB1_19 Depth=1
	v_mov_b32_e32 v0, 3
	v_cmp_eq_u16_sdwa s[20:21], v25, v0 src0_sel:BYTE_0 src1_sel:DWORD
	v_cndmask_b32_e64 v30, 0, 1, s[20:21]
	v_cmp_ne_u16_sdwa s[4:5], v25, v0 src0_sel:BYTE_0 src1_sel:DWORD
	v_mov_b32_e32 v0, v30
	;;#ASMSTART
	;;#ASMEND
	v_cmp_ne_u32_e32 vcc, 0, v0
	s_cbranch_vccz .LBB1_385
; %bb.342:                              ;   in Loop: Header=BB1_19 Depth=1
                                        ; implicit-def: $vgpr1
	s_and_saveexec_b64 s[6:7], s[20:21]
	s_cbranch_execz .LBB1_344
; %bb.343:                              ;   in Loop: Header=BB1_19 Depth=1
	v_lshlrev_b64 v[0:1], 4, v[36:37]
	v_mov_b32_e32 v2, s63
	v_add_co_u32_e32 v0, vcc, s62, v0
	v_addc_co_u32_e32 v1, vcc, v2, v1, vcc
	global_load_ushort v1, v[0:1], off
	v_add_u32_e32 v24, 0x10000, v24
	v_mov_b32_e32 v25, 2
.LBB1_344:                              ;   in Loop: Header=BB1_19 Depth=1
	s_or_b64 exec, exec, s[6:7]
	s_waitcnt vmcnt(0)
	v_and_b32_e32 v0, 0xffff, v1
                                        ; implicit-def: $sgpr8
	s_and_saveexec_b64 s[6:7], s[4:5]
	s_xor_b64 s[4:5], exec, s[6:7]
; %bb.345:                              ;   in Loop: Header=BB1_19 Depth=1
	v_and_b32_e32 v0, 0xffff, v1
	s_mov_b32 s8, 0
; %bb.346:                              ;   in Loop: Header=BB1_19 Depth=1
	s_or_saveexec_b64 s[6:7], s[4:5]
	v_mov_b32_e32 v28, s8
	v_mov_b32_e32 v29, s8
	s_xor_b64 exec, exec, s[6:7]
	s_cbranch_execz .LBB1_348
; %bb.347:                              ;   in Loop: Header=BB1_19 Depth=1
	v_cmp_gt_f32_e32 vcc, s79, v48
	v_cndmask_b32_e32 v1, 1.0, v84, vcc
	v_mul_f32_e32 v1, v48, v1
	v_log_f32_e32 v1, v1
	v_mul_f32_e32 v2, 0x3f317217, v1
	v_fma_f32 v3, v1, s68, -v2
	v_fmac_f32_e32 v3, 0x3377d1cf, v1
	v_add_f32_e32 v2, v2, v3
	v_cmp_lt_f32_e64 s[4:5], |v1|, s69
	v_cndmask_b32_e64 v1, v1, v2, s[4:5]
	v_cndmask_b32_e32 v2, 0, v85, vcc
	v_readlane_b32 s4, v127, 0
	v_sub_f32_e32 v1, v1, v2
	v_lshlrev_b32_e32 v2, 3, v0
	v_readlane_b32 s5, v127, 1
	s_nop 4
	global_load_dwordx2 v[2:3], v2, s[4:5]
	v_readlane_b32 s4, v127, 27
	v_readlane_b32 s5, v127, 28
	v_mov_b32_e32 v4, s5
	s_waitcnt vmcnt(0)
	v_fmac_f32_e32 v2, v1, v3
	v_cvt_i32_f32_e32 v2, v2
	v_mad_u32_u24 v2, v0, s94, v2
	v_ashrrev_i32_e32 v3, 31, v2
	v_lshlrev_b64 v[2:3], 3, v[2:3]
	v_add_co_u32_e32 v2, vcc, s4, v2
	v_addc_co_u32_e32 v3, vcc, v4, v3, vcc
	global_load_dwordx2 v[28:29], v[2:3], off
	s_waitcnt vmcnt(0)
	v_fmac_f32_e32 v28, v1, v29
	v_mul_f32_e32 v29, 0x42a14f65, v48
.LBB1_348:                              ;   in Loop: Header=BB1_19 Depth=1
	s_or_b64 exec, exec, s[6:7]
	s_xor_b64 s[82:83], s[20:21], -1
	v_mul_u32_u24_e32 v67, 0x64, v0
	v_mov_b32_e32 v35, 0
	v_mov_b32_e32 v26, 0
	;; [unrolled: 1-line block ×3, first 2 shown]
	s_branch .LBB1_351
.LBB1_349:                              ;   in Loop: Header=BB1_351 Depth=2
	s_or_b64 exec, exec, s[8:9]
	v_mul_f32_e32 v35, v26, v26
	s_orn2_b64 s[82:83], s[6:7], exec
.LBB1_350:                              ;   in Loop: Header=BB1_351 Depth=2
	s_or_b64 exec, exec, s[4:5]
	v_cndmask_b32_e64 v0, 0, 1, s[82:83]
	;;#ASMSTART
	;;#ASMEND
	v_cmp_ne_u32_e32 vcc, 0, v0
	s_cmp_lg_u64 vcc, exec
	s_cbranch_scc0 .LBB1_372
.LBB1_351:                              ;   Parent Loop BB1_19 Depth=1
                                        ; =>  This Loop Header: Depth=2
                                        ;       Child Loop BB1_354 Depth 3
                                        ;         Child Loop BB1_363 Depth 4
	s_xor_b64 s[22:23], s[82:83], -1
	s_branch .LBB1_354
.LBB1_352:                              ;   in Loop: Header=BB1_354 Depth=3
	s_or_b64 exec, exec, s[8:9]
	v_lshlrev_b64 v[0:1], 4, v[0:1]
	v_mov_b32_e32 v2, s53
	v_add_co_u32_e32 v0, vcc, s52, v0
	v_addc_co_u32_e32 v1, vcc, v2, v1, vcc
	global_load_dwordx4 v[0:3], v[0:1], off
	s_waitcnt vmcnt(0)
	v_sub_f32_e32 v1, v4, v1
	v_fma_f32 v1, v1, v3, 1.0
	v_cmp_gt_f32_e32 vcc, s79, v1
	v_cndmask_b32_e32 v3, 1.0, v84, vcc
	v_mul_f32_e32 v1, v1, v3
	v_log_f32_e32 v1, v1
	v_cndmask_b32_e32 v3, 0, v85, vcc
	v_mul_f32_e32 v4, 0x3f317217, v1
	v_fma_f32 v5, v1, s68, -v4
	v_fmac_f32_e32 v5, 0x3377d1cf, v1
	v_add_f32_e32 v4, v4, v5
	v_cmp_lt_f32_e64 vcc, |v1|, s69
	v_cndmask_b32_e32 v1, v1, v4, vcc
	v_sub_f32_e32 v1, v1, v3
	v_mul_f32_e32 v1, v2, v1
	v_mul_f32_e32 v2, 0x3fb8aa3b, v1
	v_fma_f32 v3, v1, s64, -v2
	v_rndne_f32_e32 v4, v2
	v_fmac_f32_e32 v3, 0x32a5705f, v1
	v_sub_f32_e32 v2, v2, v4
	v_add_f32_e32 v2, v2, v3
	v_cvt_i32_f32_e32 v4, v4
	v_exp_f32_e32 v2, v2
	v_cmp_ngt_f32_e32 vcc, s65, v1
	v_ldexp_f32 v2, v2, v4
	v_cndmask_b32_e32 v2, 0, v2, vcc
	v_cmp_nlt_f32_e32 vcc, s86, v1
	v_cndmask_b32_e32 v1, v87, v2, vcc
	v_mul_f32_e32 v68, v0, v1
	v_cmp_lt_f32_e32 vcc, v68, v29
	s_orn2_b64 s[82:83], vcc, exec
.LBB1_353:                              ;   in Loop: Header=BB1_354 Depth=3
	s_or_b64 exec, exec, s[6:7]
	v_cndmask_b32_e64 v0, 0, 1, s[82:83]
	;;#ASMSTART
	;;#ASMEND
	v_cmp_ne_u32_e32 vcc, 0, v0
	s_cmp_lg_u64 vcc, exec
	s_cbranch_scc0 .LBB1_365
.LBB1_354:                              ;   Parent Loop BB1_19 Depth=1
                                        ;     Parent Loop BB1_351 Depth=2
                                        ; =>    This Loop Header: Depth=3
                                        ;         Child Loop BB1_363 Depth 4
	flat_load_ubyte v0, v[52:53] glc
	s_waitcnt vmcnt(0) lgkmcnt(0)
	v_cmp_lt_u32_e32 vcc, 1, v0
	v_add_u32_e32 v0, 1, v0
	s_and_saveexec_b64 s[84:85], vcc
	s_cbranch_execz .LBB1_356
; %bb.355:                              ;   in Loop: Header=BB1_354 Depth=3
	s_add_u32 s8, s16, 8
	s_addc_u32 s9, s17, 0
	s_getpc_b64 s[4:5]
	s_add_u32 s4, s4, _Z17MT_generate_arrayv@rel32@lo+4
	s_addc_u32 s5, s5, _Z17MT_generate_arrayv@rel32@hi+12
	s_swappc_b64 s[30:31], s[4:5]
	v_mov_b32_e32 v0, 0
.LBB1_356:                              ;   in Loop: Header=BB1_354 Depth=3
	s_or_b64 exec, exec, s[84:85]
	s_and_saveexec_b64 s[4:5], s[18:19]
	s_cbranch_execz .LBB1_358
; %bb.357:                              ;   in Loop: Header=BB1_354 Depth=3
	flat_store_byte v[52:53], v0
	s_waitcnt vmcnt(0)
.LBB1_358:                              ;   in Loop: Header=BB1_354 Depth=3
	s_or_b64 exec, exec, s[4:5]
	s_xor_b64 s[4:5], s[82:83], -1
	s_mov_b64 s[82:83], -1
	s_and_saveexec_b64 s[6:7], s[4:5]
	s_cbranch_execz .LBB1_353
; %bb.359:                              ;   in Loop: Header=BB1_354 Depth=3
	v_lshl_or_b32 v0, v0, 7, v79
	v_mad_u32_u24 v0, v78, s78, v0
	ds_read_b32 v0, v0 offset:6464
	v_mov_b32_e32 v2, s99
	s_waitcnt lgkmcnt(0)
	v_mul_f32_e32 v4, v28, v0
	v_mul_f32_e32 v0, 0x42c60000, v4
	v_cvt_i32_f32_e32 v0, v0
	v_add_u32_e32 v0, v67, v0
	v_ashrrev_i32_e32 v1, 31, v0
	v_lshlrev_b64 v[0:1], 2, v[0:1]
	v_add_co_u32_e32 v0, vcc, s98, v0
	v_addc_co_u32_e32 v1, vcc, v2, v1, vcc
	global_load_dwordx2 v[0:1], v[0:1], off
	s_waitcnt vmcnt(0)
	v_add_u32_e32 v5, -1, v0
	v_add_u32_e32 v0, -1, v1
	v_cmp_le_i32_e32 vcc, v0, v5
                                        ; implicit-def: $vgpr0_vgpr1
	s_and_saveexec_b64 s[4:5], vcc
	s_xor_b64 s[4:5], exec, s[4:5]
; %bb.360:                              ;   in Loop: Header=BB1_354 Depth=3
	v_add_u32_e32 v0, v5, v67
	v_ashrrev_i32_e32 v1, 31, v0
                                        ; implicit-def: $vgpr5
; %bb.361:                              ;   in Loop: Header=BB1_354 Depth=3
	s_andn2_saveexec_b64 s[8:9], s[4:5]
	s_cbranch_execz .LBB1_352
; %bb.362:                              ;   in Loop: Header=BB1_354 Depth=3
	v_add_u32_e32 v0, v67, v5
	v_ashrrev_i32_e32 v1, 31, v0
	v_lshlrev_b64 v[2:3], 4, v[0:1]
	v_mov_b32_e32 v6, s77
	v_add_co_u32_e32 v2, vcc, s76, v2
	v_addc_co_u32_e32 v3, vcc, v6, v3, vcc
	v_add_co_u32_e32 v0, vcc, -1, v0
	v_addc_co_u32_e32 v1, vcc, -1, v1, vcc
	s_mov_b64 s[10:11], 0
.LBB1_363:                              ;   Parent Loop BB1_19 Depth=1
                                        ;     Parent Loop BB1_351 Depth=2
                                        ;       Parent Loop BB1_354 Depth=3
                                        ; =>      This Inner Loop Header: Depth=4
	global_load_dword v6, v[2:3], off
	v_cmp_lt_i32_e64 s[4:5], s43, v5
	v_add_u32_e32 v5, 1, v5
	s_waitcnt vmcnt(0)
	v_cmp_lt_f32_e32 vcc, v4, v6
	s_or_b64 s[4:5], s[4:5], vcc
	v_add_co_u32_e32 v2, vcc, 16, v2
	v_addc_co_u32_e32 v3, vcc, 0, v3, vcc
	v_add_co_u32_e32 v0, vcc, 1, v0
	s_and_b64 s[4:5], exec, s[4:5]
	v_addc_co_u32_e32 v1, vcc, 0, v1, vcc
	s_or_b64 s[10:11], s[4:5], s[10:11]
	s_andn2_b64 exec, exec, s[10:11]
	s_cbranch_execnz .LBB1_363
; %bb.364:                              ;   in Loop: Header=BB1_354 Depth=3
	s_or_b64 exec, exec, s[10:11]
	s_branch .LBB1_352
.LBB1_365:                              ;   in Loop: Header=BB1_351 Depth=2
	flat_load_ubyte v0, v[52:53] glc
	s_waitcnt vmcnt(0) lgkmcnt(0)
	v_cmp_lt_u32_e32 vcc, 1, v0
	v_add_u32_e32 v0, 1, v0
	s_and_saveexec_b64 s[82:83], vcc
	s_cbranch_execz .LBB1_368
; %bb.366:                              ;   in Loop: Header=BB1_351 Depth=2
	s_add_u32 s8, s16, 8
	s_addc_u32 s9, s17, 0
	s_getpc_b64 s[4:5]
	s_add_u32 s4, s4, _Z17MT_generate_arrayv@rel32@lo+4
	s_addc_u32 s5, s5, _Z17MT_generate_arrayv@rel32@hi+12
	s_swappc_b64 s[30:31], s[4:5]
	v_mov_b32_e32 v0, 0
	s_or_b64 exec, exec, s[82:83]
	s_and_saveexec_b64 s[4:5], s[18:19]
	s_cbranch_execnz .LBB1_369
.LBB1_367:                              ;   in Loop: Header=BB1_351 Depth=2
	s_or_b64 exec, exec, s[4:5]
	s_mov_b64 s[82:83], -1
	s_and_saveexec_b64 s[4:5], s[22:23]
	s_cbranch_execz .LBB1_350
	s_branch .LBB1_370
.LBB1_368:                              ;   in Loop: Header=BB1_351 Depth=2
	s_or_b64 exec, exec, s[82:83]
	s_and_saveexec_b64 s[4:5], s[18:19]
	s_cbranch_execz .LBB1_367
.LBB1_369:                              ;   in Loop: Header=BB1_351 Depth=2
	flat_store_byte v[52:53], v0
	s_waitcnt vmcnt(0)
	s_or_b64 exec, exec, s[4:5]
	s_mov_b64 s[82:83], -1
	s_and_saveexec_b64 s[4:5], s[22:23]
	s_cbranch_execz .LBB1_350
.LBB1_370:                              ;   in Loop: Header=BB1_351 Depth=2
	v_div_scale_f32 v1, s[6:7], v48, v48, v68
	v_rcp_f32_e32 v2, v1
	v_lshl_or_b32 v0, v0, 7, v79
	v_mad_u32_u24 v0, v78, s78, v0
	ds_read_b32 v0, v0 offset:6464
	v_fma_f32 v3, -v1, v2, 1.0
	v_fmac_f32_e32 v2, v3, v2
	v_div_scale_f32 v3, vcc, v68, v48, v68
	v_mul_f32_e32 v4, v3, v2
	v_fma_f32 v5, -v1, v4, v3
	v_fmac_f32_e32 v4, v5, v2
	v_fma_f32 v1, -v1, v4, v3
	v_div_fmas_f32 v1, v1, v2, v4
	v_div_fixup_f32 v68, v1, v48, v68
	v_mul_f32_e32 v1, 0xb9a1307f, v68
	v_fma_f32 v26, v68, v1, 1.0
	s_waitcnt lgkmcnt(0)
	v_add_f32_e32 v0, v0, v0
	v_fma_f32 v1, v26, v26, 1.0
	v_cmp_lt_f32_e32 vcc, v0, v1
	s_mov_b64 s[6:7], 0
	s_and_saveexec_b64 s[8:9], vcc
	s_cbranch_execz .LBB1_349
; %bb.371:                              ;   in Loop: Header=BB1_351 Depth=2
	s_mov_b64 s[6:7], exec
	s_branch .LBB1_349
.LBB1_372:                              ;   in Loop: Header=BB1_19 Depth=1
	flat_load_ubyte v0, v[52:53] glc
	s_waitcnt vmcnt(0) lgkmcnt(0)
	v_cmp_lt_u32_e32 vcc, 1, v0
	v_add_u32_e32 v0, 1, v0
	s_and_saveexec_b64 s[22:23], vcc
	s_cbranch_execz .LBB1_375
; %bb.373:                              ;   in Loop: Header=BB1_19 Depth=1
	s_add_u32 s8, s16, 8
	s_addc_u32 s9, s17, 0
	s_getpc_b64 s[4:5]
	s_add_u32 s4, s4, _Z17MT_generate_arrayv@rel32@lo+4
	s_addc_u32 s5, s5, _Z17MT_generate_arrayv@rel32@hi+12
	s_swappc_b64 s[30:31], s[4:5]
	v_mov_b32_e32 v0, 0
	s_or_b64 exec, exec, s[22:23]
	s_and_saveexec_b64 s[4:5], s[18:19]
	s_cbranch_execnz .LBB1_376
.LBB1_374:                              ;   in Loop: Header=BB1_19 Depth=1
	s_or_b64 exec, exec, s[4:5]
	s_and_saveexec_b64 s[6:7], s[20:21]
	s_cbranch_execnz .LBB1_377
	s_branch .LBB1_382
.LBB1_375:                              ;   in Loop: Header=BB1_19 Depth=1
	s_or_b64 exec, exec, s[22:23]
	s_and_saveexec_b64 s[4:5], s[18:19]
	s_cbranch_execz .LBB1_374
.LBB1_376:                              ;   in Loop: Header=BB1_19 Depth=1
	flat_store_byte v[52:53], v0
	s_waitcnt vmcnt(0)
	s_or_b64 exec, exec, s[4:5]
	s_and_saveexec_b64 s[6:7], s[20:21]
	s_cbranch_execz .LBB1_382
.LBB1_377:                              ;   in Loop: Header=BB1_19 Depth=1
	v_sub_f32_e32 v1, 1.0, v35
	v_mul_f32_e32 v2, 0x4f800000, v1
	v_cmp_gt_f32_e32 vcc, s96, v1
	v_cndmask_b32_e32 v1, v1, v2, vcc
	v_sqrt_f32_e32 v2, v1
	v_lshl_or_b32 v0, v0, 7, v79
	v_mad_u32_u24 v0, v78, s78, v0
	ds_read_b32 v0, v0 offset:6464
	v_add_u32_e32 v3, -1, v2
	v_fma_f32 v5, -v3, v2, v1
	v_add_u32_e32 v4, 1, v2
	v_cmp_ge_f32_e64 s[4:5], 0, v5
	v_cndmask_b32_e64 v3, v2, v3, s[4:5]
	v_fma_f32 v2, -v4, v2, v1
	v_cmp_lt_f32_e64 s[4:5], 0, v2
	v_cndmask_b32_e64 v2, v3, v4, s[4:5]
	v_mul_f32_e32 v3, 0x37800000, v2
	s_waitcnt lgkmcnt(0)
	v_mul_f32_e32 v0, 0x40c90fdb, v0
	v_cndmask_b32_e32 v2, v2, v3, vcc
	v_cmp_class_f32_e32 vcc, v1, v82
	v_mul_f32_e32 v0, 0.15915494, v0
	v_cndmask_b32_e32 v35, v2, v1, vcc
	v_sin_f32_e32 v2, v0
	v_cos_f32_e32 v3, v0
	v_pk_mul_f32 v[0:1], v[32:33], v[32:33]
	v_add_f32_e32 v0, v1, v0
	s_mov_b32 s4, 0x1e3ce508
	v_cmp_ngt_f32_e32 vcc, s4, v0
	v_mul_f32_e32 v1, v35, v2
	s_and_saveexec_b64 s[4:5], vcc
	s_xor_b64 s[8:9], exec, s[4:5]
	s_cbranch_execz .LBB1_379
; %bb.378:                              ;   in Loop: Header=BB1_19 Depth=1
	v_mul_f32_e32 v2, 0x4f800000, v0
	v_cmp_gt_f32_e32 vcc, s96, v0
	v_cndmask_b32_e32 v0, v0, v2, vcc
	v_sqrt_f32_e32 v2, v0
	v_add_u32_e32 v4, -1, v2
	v_fma_f32 v6, -v4, v2, v0
	v_add_u32_e32 v5, 1, v2
	v_cmp_ge_f32_e64 s[4:5], 0, v6
	v_cndmask_b32_e64 v4, v2, v4, s[4:5]
	v_fma_f32 v2, -v5, v2, v0
	v_cmp_lt_f32_e64 s[4:5], 0, v2
	v_cndmask_b32_e64 v2, v4, v5, s[4:5]
	v_mul_f32_e32 v4, 0x37800000, v2
	v_cndmask_b32_e32 v2, v2, v4, vcc
	v_cmp_class_f32_e32 vcc, v0, v82
	v_cndmask_b32_e32 v0, v2, v0, vcc
	v_div_scale_f32 v2, s[4:5], v0, v0, v33
	v_rcp_f32_e32 v4, v2
	v_fma_f32 v5, -v2, v4, 1.0
	v_fmac_f32_e32 v4, v5, v4
	v_div_scale_f32 v5, vcc, v33, v0, v33
	v_mul_f32_e32 v6, v5, v4
	v_fma_f32 v7, -v2, v6, v5
	v_fmac_f32_e32 v6, v7, v4
	v_fma_f32 v2, -v2, v6, v5
	v_div_scale_f32 v5, s[4:5], v0, v0, v32
	v_rcp_f32_e32 v7, v5
	v_div_fmas_f32 v2, v2, v4, v6
	v_div_fixup_f32 v2, v2, v0, v33
	v_fma_f32 v4, -v5, v7, 1.0
	v_fmac_f32_e32 v7, v4, v7
	v_div_scale_f32 v4, vcc, v32, v0, v32
	v_mul_f32_e32 v6, v4, v7
	v_fma_f32 v8, -v5, v6, v4
	v_fmac_f32_e32 v6, v8, v7
	v_fma_f32 v4, -v5, v6, v4
	v_div_fmas_f32 v4, v4, v7, v6
	v_div_fixup_f32 v6, v4, v0, v32
	v_mul_f32_e32 v4, v34, v6
	v_mul_f32_e32 v5, v2, v1
	v_pk_mul_f32 v[2:3], v[34:35], v[2:3]
	v_fma_f32 v4, v4, v3, -v5
	v_mul_f32_e32 v5, v2, v3
	v_fmac_f32_e32 v5, v6, v1
	v_mul_f32_e32 v0, v0, v3
	v_pk_fma_f32 v[32:33], v[32:33], v[26:27], v[4:5] op_sel_hi:[1,0,1]
	v_fma_f32 v34, v34, v26, -v0
                                        ; implicit-def: $vgpr3
                                        ; implicit-def: $vgpr1
.LBB1_379:                              ;   in Loop: Header=BB1_19 Depth=1
	s_andn2_saveexec_b64 s[4:5], s[8:9]
; %bb.380:                              ;   in Loop: Header=BB1_19 Depth=1
	v_mul_f32_e32 v0, v35, v3
	v_mul_f32_e32 v34, v34, v26
	v_pk_mov_b32 v[32:33], v[0:1], v[0:1] op_sel:[0,1]
; %bb.381:                              ;   in Loop: Header=BB1_19 Depth=1
	s_or_b64 exec, exec, s[4:5]
.LBB1_382:                              ;   in Loop: Header=BB1_19 Depth=1
	s_or_b64 exec, exec, s[6:7]
	v_cndmask_b32_e64 v0, 0, 1, s[20:21]
	v_cmp_ne_u32_e32 vcc, 0, v0
	s_and_saveexec_b64 s[4:5], s[18:19]
	s_cbranch_execz .LBB1_384
; %bb.383:                              ;   in Loop: Header=BB1_19 Depth=1
	buffer_load_dword v2, off, s[0:3], 0 offset:148 ; 4-byte Folded Reload
	buffer_load_dword v3, off, s[0:3], 0 offset:152 ; 4-byte Folded Reload
	s_bcnt1_i32_b32 s6, vcc_lo
	s_waitcnt vmcnt(0)
	flat_load_dword v0, v[2:3] glc
	s_waitcnt vmcnt(0) lgkmcnt(0)
	v_add_u32_e32 v0, s6, v0
	flat_store_dword v[2:3], v0
	s_waitcnt vmcnt(0)
	flat_load_dword v0, v[58:59] glc
	s_waitcnt vmcnt(0) lgkmcnt(0)
	v_add_u32_e32 v0, 1, v0
	flat_store_dword v[58:59], v0
	s_waitcnt vmcnt(0)
.LBB1_384:                              ;   in Loop: Header=BB1_19 Depth=1
	s_or_b64 exec, exec, s[4:5]
.LBB1_385:                              ;   in Loop: Header=BB1_19 Depth=1
	v_or_b32_e32 v0, v66, v30
	v_mov_b32_e32 v1, v0
	;;#ASMSTART
	;;#ASMEND
	v_cmp_ne_u32_e32 vcc, 0, v1
	s_cmp_eq_u64 vcc, exec
	s_cbranch_scc1 .LBB1_396
; %bb.386:                              ;   in Loop: Header=BB1_19 Depth=1
	v_mov_b32_e32 v1, 6
	v_cmp_eq_u16_sdwa s[4:5], v25, v1 src0_sel:BYTE_0 src1_sel:DWORD
	v_cndmask_b32_e64 v30, 0, 1, s[4:5]
	v_mov_b32_e32 v1, v30
	;;#ASMSTART
	;;#ASMEND
	v_cmp_ne_u32_e32 vcc, 0, v1
	s_cbranch_vccz .LBB1_390
; %bb.387:                              ;   in Loop: Header=BB1_19 Depth=1
	v_cndmask_b32_e64 v1, 0, 1, s[4:5]
	v_cmp_ne_u32_e32 vcc, 0, v1
	s_and_saveexec_b64 s[6:7], s[18:19]
	s_cbranch_execz .LBB1_389
; %bb.388:                              ;   in Loop: Header=BB1_19 Depth=1
	buffer_load_dword v2, off, s[0:3], 0 offset:156 ; 4-byte Folded Reload
	buffer_load_dword v3, off, s[0:3], 0 offset:160 ; 4-byte Folded Reload
	s_bcnt1_i32_b32 s8, vcc_lo
	s_waitcnt vmcnt(0)
	flat_load_dword v1, v[2:3] glc
	s_waitcnt vmcnt(0) lgkmcnt(0)
	v_add_u32_e32 v1, s8, v1
	flat_store_dword v[2:3], v1
	s_waitcnt vmcnt(0)
	flat_load_dword v1, v[58:59] glc
	s_waitcnt vmcnt(0) lgkmcnt(0)
	v_add_u32_e32 v1, 1, v1
	flat_store_dword v[58:59], v1
	s_waitcnt vmcnt(0)
.LBB1_389:                              ;   in Loop: Header=BB1_19 Depth=1
	s_or_b64 exec, exec, s[6:7]
	v_cndmask_b32_e64 v25, v25, 8, s[4:5]
.LBB1_390:                              ;   in Loop: Header=BB1_19 Depth=1
	v_or_b32_e32 v0, v0, v30
	v_mov_b32_e32 v1, v0
	;;#ASMSTART
	;;#ASMEND
	v_cmp_ne_u32_e32 vcc, 0, v1
	s_cmp_eq_u64 vcc, exec
	s_cbranch_scc1 .LBB1_396
; %bb.391:                              ;   in Loop: Header=BB1_19 Depth=1
	v_cmp_eq_u16_sdwa s[4:5], v25, v37 src0_sel:BYTE_0 src1_sel:DWORD
	v_cndmask_b32_e64 v30, 0, 1, s[4:5]
	v_mov_b32_e32 v1, v30
	;;#ASMSTART
	;;#ASMEND
	v_cmp_ne_u32_e32 vcc, 0, v1
	s_cbranch_vccz .LBB1_395
; %bb.392:                              ;   in Loop: Header=BB1_19 Depth=1
	v_cndmask_b32_e64 v1, 0, 1, s[4:5]
	v_cmp_ne_u32_e32 vcc, 0, v1
	s_and_saveexec_b64 s[6:7], s[18:19]
	s_cbranch_execz .LBB1_394
; %bb.393:                              ;   in Loop: Header=BB1_19 Depth=1
	flat_load_dword v1, v[44:45] glc
	s_waitcnt vmcnt(0)
	s_bcnt1_i32_b32 s8, vcc_lo
	s_waitcnt lgkmcnt(0)
	v_add_u32_e32 v1, s8, v1
	flat_store_dword v[44:45], v1
	s_waitcnt vmcnt(0)
	flat_load_dword v1, v[58:59] glc
	s_waitcnt vmcnt(0) lgkmcnt(0)
	v_add_u32_e32 v1, 1, v1
	flat_store_dword v[58:59], v1
	s_waitcnt vmcnt(0)
.LBB1_394:                              ;   in Loop: Header=BB1_19 Depth=1
	s_or_b64 exec, exec, s[6:7]
	v_cndmask_b32_e64 v25, v25, 8, s[4:5]
.LBB1_395:                              ;   in Loop: Header=BB1_19 Depth=1
	v_or_b32_e32 v0, v30, v0
	v_xor_b32_e32 v0, 1, v0
	;;#ASMSTART
	;;#ASMEND
	v_cmp_ne_u32_e32 vcc, 0, v0
	s_cmp_lg_u64 vcc, exec
	s_cselect_b64 s[6:7], -1, 0
	s_xor_b64 s[8:9], s[34:35], -1
	s_mov_b64 s[4:5], -1
	s_or_b64 s[6:7], s[6:7], s[8:9]
	v_mov_b32_e32 v26, v30
	s_and_b64 vcc, exec, s[6:7]
	s_cbranch_vccnz .LBB1_18
	s_branch .LBB1_397
.LBB1_396:                              ;   in Loop: Header=BB1_19 Depth=1
                                        ; implicit-def: $sgpr4_sgpr5
	v_mov_b32_e32 v26, v30
	s_cbranch_execnz .LBB1_18
.LBB1_397:                              ;   in Loop: Header=BB1_19 Depth=1
                                        ; implicit-def: $sgpr61
                                        ; implicit-def: $vgpr26
	s_andn2_b64 vcc, exec, s[54:55]
	s_cbranch_vccnz .LBB1_19
.LBB1_398:
	s_and_b64 vcc, exec, s[4:5]
	s_cbranch_vccz .LBB1_400
; %bb.399:
	v_mov_b32_e32 v35, v27
	v_mov_b32_e32 v26, v30
.LBB1_400:
	v_cmp_gt_u32_e32 vcc, 9, v31
	s_waitcnt lgkmcnt(0)
	s_barrier
	s_and_saveexec_b64 s[4:5], vcc
	s_cbranch_execz .LBB1_402
; %bb.401:
	v_lshlrev_b32_e32 v0, 2, v31
	v_add_u32_e32 v10, 0x4000, v0
	ds_read2_b32 v[0:1], v10 offset0:80 offset1:89
	ds_read2_b32 v[2:3], v10 offset0:98 offset1:107
	;; [unrolled: 1-line block ×5, first 2 shown]
	s_waitcnt lgkmcnt(4)
	v_add_u32_e32 v0, v1, v0
	s_waitcnt lgkmcnt(3)
	v_add3_u32 v0, v2, v0, v3
	s_waitcnt lgkmcnt(2)
	v_add3_u32 v4, v4, v0, v5
	s_getpc_b64 s[6:7]
	s_add_u32 s6, s6, total_step_counts@rel32@lo+4
	s_addc_u32 s7, s7, total_step_counts@rel32@hi+12
	ds_read2_b32 v[0:1], v10 offset0:170 offset1:179
	ds_read2_b32 v[2:3], v10 offset0:188 offset1:197
	s_waitcnt lgkmcnt(3)
	v_add3_u32 v4, v6, v4, v7
	s_load_dwordx2 s[6:7], s[6:7], 0x0
	s_waitcnt lgkmcnt(0)
	v_add3_u32 v6, v8, v4, v9
	ds_read2_b32 v[4:5], v10 offset0:206 offset1:215
	v_add3_u32 v0, v0, v6, v1
	s_mul_i32 s9, s28, 0x48
	v_add3_u32 v0, v2, v0, v3
	s_mul_hi_u32 s8, s28, 0x48
	s_add_u32 s6, s6, s9
	s_waitcnt lgkmcnt(0)
	v_add3_u32 v0, v4, v0, v5
	v_mov_b32_e32 v1, 0
	s_addc_u32 s7, s7, s8
	v_lshlrev_b32_e32 v2, 3, v31
	global_store_dwordx2 v2, v[0:1], s[6:7]
.LBB1_402:
	s_or_b64 exec, exec, s[4:5]
	v_cmp_eq_u32_e32 vcc, 0, v31
	s_and_saveexec_b64 s[4:5], vcc
	s_cbranch_execz .LBB1_406
; %bb.403:
	s_mov_b64 s[6:7], src_shared_base
	v_mov_b32_e32 v0, 0x4480
	v_mov_b32_e32 v1, s7
	flat_load_dwordx2 v[2:3], v[0:1] glc
	s_waitcnt vmcnt(0)
	v_mov_b32_e32 v0, 0x4488
	flat_load_dwordx2 v[4:5], v[0:1] glc
	s_waitcnt vmcnt(0)
	;; [unrolled: 3-line block ×15, first 2 shown]
	v_mov_b32_e32 v0, 0x44f8
	flat_load_dwordx2 v[0:1], v[0:1] glc
	s_waitcnt vmcnt(0) lgkmcnt(0)
	v_add_f64 v[2:3], v[2:3], 0
	v_add_f64 v[2:3], v[2:3], v[4:5]
	;; [unrolled: 1-line block ×16, first 2 shown]
	v_cmp_lt_f64_e32 vcc, 0, v[0:1]
	s_and_saveexec_b64 s[6:7], vcc
	s_cbranch_execz .LBB1_405
; %bb.404:
	s_getpc_b64 s[8:9]
	s_add_u32 s8, s8, total_weights@rel32@lo+4
	s_addc_u32 s9, s9, total_weights@rel32@hi+12
	s_load_dwordx2 s[8:9], s[8:9], 0x0
	s_lshl_b64 s[10:11], s[28:29], 3
	v_mov_b32_e32 v4, 0
	s_waitcnt lgkmcnt(0)
	s_add_u32 s8, s8, s10
	s_addc_u32 s9, s9, s11
	global_load_dwordx2 v[2:3], v4, s[8:9]
	s_waitcnt vmcnt(0)
	v_add_f64 v[0:1], v[0:1], v[2:3]
	global_store_dwordx2 v4, v[0:1], s[8:9]
.LBB1_405:
	s_or_b64 exec, exec, s[6:7]
	s_mov_b64 s[6:7], src_shared_base
	v_mov_b32_e32 v0, 0x4500
	v_mov_b32_e32 v1, s7
	flat_load_dword v2, v[0:1] glc
	s_waitcnt vmcnt(0)
	v_mov_b32_e32 v0, 0x4540
	flat_load_dword v4, v[0:1] glc
	s_waitcnt vmcnt(0)
	;; [unrolled: 3-line block ×32, first 2 shown]
	s_getpc_b64 s[6:7]
	s_add_u32 s6, s6, total_list_depth@rel32@lo+4
	s_addc_u32 s7, s7, total_list_depth@rel32@hi+12
	s_load_dwordx2 s[6:7], s[6:7], 0x0
	s_lshl_b64 s[8:9], s[28:29], 3
	v_mov_b32_e32 v1, 0
	v_mov_b32_e32 v3, v1
	s_waitcnt lgkmcnt(0)
	s_add_u32 s6, s6, s8
	s_addc_u32 s7, s7, s9
	s_getpc_b64 s[10:11]
	s_add_u32 s10, s10, total_num_inner_iterations@rel32@lo+4
	s_addc_u32 s11, s11, total_num_inner_iterations@rel32@hi+12
	s_load_dwordx2 s[10:11], s[10:11], 0x0
	s_waitcnt lgkmcnt(0)
	s_add_u32 s8, s10, s8
	s_addc_u32 s9, s11, s9
	v_add_u32_e32 v0, v5, v2
	v_add_u32_e32 v2, v6, v4
	v_add3_u32 v0, v7, v0, v9
	v_add3_u32 v2, v8, v2, v10
	;; [unrolled: 1-line block ×13, first 2 shown]
	global_store_dwordx2 v1, v[0:1], s[6:7]
	v_add3_u32 v2, v41, v2, v43
	global_store_dwordx2 v1, v[2:3], s[8:9]
.LBB1_406:
	s_or_b64 exec, exec, s[4:5]
	buffer_load_dword v4, off, s[0:3], 0 offset:108 ; 4-byte Folded Reload
	buffer_load_dword v5, off, s[0:3], 0 offset:112 ; 4-byte Folded Reload
	v_lshlrev_b32_e32 v0, 24, v26
	v_and_b32_e32 v1, 0xff, v81
	v_lshl_or_b32 v0, v1, 16, v0
	v_mov_b32_e32 v1, 8
	v_lshlrev_b32_sdwa v1, v1, v93 dst_sel:DWORD dst_unused:UNUSED_PAD src0_sel:DWORD src1_sel:BYTE_0
	v_and_b32_e32 v2, 0xff, v25
	v_or3_b32 v0, v0, v1, v2
	v_mov_b32_e32 v1, v48
	v_mov_b32_e32 v2, v49
	;; [unrolled: 1-line block ×5, first 2 shown]
	s_getpc_b64 s[4:5]
	s_add_u32 s4, s4, MT_statuses@rel32@lo+4
	s_addc_u32 s5, s5, MT_statuses@rel32@hi+12
	s_load_dwordx2 s[4:5], s[4:5], 0x0
	s_mov_b64 s[6:7], 0
	s_waitcnt vmcnt(0)
	global_store_dwordx4 v[4:5], v[0:3], off
	buffer_load_dword v0, off, s[0:3], 0 offset:116 ; 4-byte Folded Reload
	s_nop 0
	buffer_load_dword v1, off, s[0:3], 0 offset:120 ; 4-byte Folded Reload
	v_lshl_add_u32 v2, s28, 11, v77
	s_waitcnt lgkmcnt(0)
	v_mov_b32_e32 v3, s5
	s_movk_i32 s5, 0x44
	s_waitcnt vmcnt(0)
	global_store_dwordx4 v[0:1], v[24:27], off
	buffer_load_dword v0, off, s[0:3], 0 offset:124 ; 4-byte Folded Reload
	s_nop 0
	buffer_load_dword v1, off, s[0:3], 0 offset:128 ; 4-byte Folded Reload
	s_waitcnt vmcnt(0)
	global_store_dwordx4 v[0:1], v[32:35], off
	v_mov_b32_e32 v1, 0
.LBB1_407:                              ; =>This Inner Loop Header: Depth=1
	ds_read_b32 v6, v76
	v_add_u32_e32 v0, v2, v126
	v_cmp_lt_u32_e32 vcc, s5, v126
	v_lshlrev_b64 v[4:5], 2, v[0:1]
	v_add_u32_e32 v7, 32, v126
	s_or_b64 s[6:7], vcc, s[6:7]
	v_add_co_u32_e32 v4, vcc, s4, v4
	v_add_u32_e32 v76, 0x80, v76
	v_mov_b32_e32 v126, v7
	v_addc_co_u32_e32 v5, vcc, v3, v5, vcc
	s_waitcnt lgkmcnt(0)
	global_store_dword v[4:5], v6, off
	s_andn2_b64 exec, exec, s[6:7]
	s_cbranch_execnz .LBB1_407
; %bb.408:
	s_endpgm
	.section	.rodata,"a",@progbits
	.p2align	6, 0x0
	.amdhsa_kernel _Z22simulation_step_kernelbb
		.amdhsa_group_segment_fixed_size 17808
		.amdhsa_private_segment_fixed_size 176
		.amdhsa_kernarg_size 264
		.amdhsa_user_sgpr_count 8
		.amdhsa_user_sgpr_private_segment_buffer 1
		.amdhsa_user_sgpr_dispatch_ptr 0
		.amdhsa_user_sgpr_queue_ptr 0
		.amdhsa_user_sgpr_kernarg_segment_ptr 1
		.amdhsa_user_sgpr_dispatch_id 0
		.amdhsa_user_sgpr_flat_scratch_init 1
		.amdhsa_user_sgpr_kernarg_preload_length 0
		.amdhsa_user_sgpr_kernarg_preload_offset 0
		.amdhsa_user_sgpr_private_segment_size 0
		.amdhsa_uses_dynamic_stack 0
		.amdhsa_system_sgpr_private_segment_wavefront_offset 1
		.amdhsa_system_sgpr_workgroup_id_x 1
		.amdhsa_system_sgpr_workgroup_id_y 1
		.amdhsa_system_sgpr_workgroup_id_z 0
		.amdhsa_system_sgpr_workgroup_info 0
		.amdhsa_system_vgpr_workitem_id 0
		.amdhsa_next_free_vgpr 128
		.amdhsa_next_free_sgpr 100
		.amdhsa_accum_offset 128
		.amdhsa_reserve_vcc 1
		.amdhsa_reserve_flat_scratch 1
		.amdhsa_float_round_mode_32 0
		.amdhsa_float_round_mode_16_64 0
		.amdhsa_float_denorm_mode_32 3
		.amdhsa_float_denorm_mode_16_64 3
		.amdhsa_dx10_clamp 1
		.amdhsa_ieee_mode 1
		.amdhsa_fp16_overflow 0
		.amdhsa_tg_split 0
		.amdhsa_exception_fp_ieee_invalid_op 0
		.amdhsa_exception_fp_denorm_src 0
		.amdhsa_exception_fp_ieee_div_zero 0
		.amdhsa_exception_fp_ieee_overflow 0
		.amdhsa_exception_fp_ieee_underflow 0
		.amdhsa_exception_fp_ieee_inexact 0
		.amdhsa_exception_int_div_zero 0
	.end_amdhsa_kernel
	.text
.Lfunc_end1:
	.size	_Z22simulation_step_kernelbb, .Lfunc_end1-_Z22simulation_step_kernelbb
                                        ; -- End function
	.section	.AMDGPU.csdata,"",@progbits
; Kernel info:
; codeLenInByte = 21304
; NumSgprs: 106
; NumVgprs: 128
; NumAgprs: 0
; TotalNumVgprs: 128
; ScratchSize: 176
; MemoryBound: 1
; FloatMode: 240
; IeeeMode: 1
; LDSByteSize: 17808 bytes/workgroup (compile time only)
; SGPRBlocks: 13
; VGPRBlocks: 15
; NumSGPRsForWavesPerEU: 106
; NumVGPRsForWavesPerEU: 128
; AccumOffset: 128
; Occupancy: 4
; WaveLimiterHint : 1
; COMPUTE_PGM_RSRC2:SCRATCH_EN: 1
; COMPUTE_PGM_RSRC2:USER_SGPR: 8
; COMPUTE_PGM_RSRC2:TRAP_HANDLER: 0
; COMPUTE_PGM_RSRC2:TGID_X_EN: 1
; COMPUTE_PGM_RSRC2:TGID_Y_EN: 1
; COMPUTE_PGM_RSRC2:TGID_Z_EN: 0
; COMPUTE_PGM_RSRC2:TIDIG_COMP_CNT: 0
; COMPUTE_PGM_RSRC3_GFX90A:ACCUM_OFFSET: 31
; COMPUTE_PGM_RSRC3_GFX90A:TG_SPLIT: 0
	.text
	.protected	_Z26sum_detector_scores_kernelv ; -- Begin function _Z26sum_detector_scores_kernelv
	.globl	_Z26sum_detector_scores_kernelv
	.p2align	8
	.type	_Z26sum_detector_scores_kernelv,@function
_Z26sum_detector_scores_kernelv:        ; @_Z26sum_detector_scores_kernelv
; %bb.0:
	s_getpc_b64 s[0:1]
	s_add_u32 s0, s0, detector@rel32@lo+28
	s_addc_u32 s1, s1, detector@rel32@hi+36
	s_load_dwordx2 s[0:1], s[0:1], 0x0
	s_waitcnt lgkmcnt(0)
	s_mul_i32 s33, s1, s0
	v_cmp_gt_u32_e32 vcc, s33, v0
	s_and_saveexec_b64 s[0:1], vcc
	s_cbranch_execz .LBB2_5
; %bb.1:
	s_and_b32 s2, s6, 3
	s_getpc_b64 s[0:1]
	s_add_u32 s0, s0, detector_totals_count@rel32@lo+4
	s_addc_u32 s1, s1, detector_totals_count@rel32@hi+12
	s_lshl_b32 s7, s2, 3
	s_add_u32 s8, s7, s0
	s_addc_u32 s9, 0, s1
	s_getpc_b64 s[0:1]
	s_add_u32 s0, s0, detector_totals_energy@rel32@lo+4
	s_addc_u32 s1, s1, detector_totals_energy@rel32@hi+12
	s_add_u32 s10, s7, s0
	s_addc_u32 s11, 0, s1
	s_getpc_b64 s[0:1]
	s_add_u32 s0, s0, detector_scores_energy@rel32@lo+4
	s_addc_u32 s1, s1, detector_scores_energy@rel32@hi+12
	s_getpc_b64 s[2:3]
	s_add_u32 s2, s2, detector_scores_count@rel32@lo+4
	s_addc_u32 s3, s3, detector_scores_count@rel32@hi+12
	s_cmp_lt_u32 s6, 4
	s_load_dword s4, s[4:5], 0xc
	s_cselect_b32 s3, s1, s3
	s_cselect_b32 s2, s0, s2
	;; [unrolled: 1-line block ×4, first 2 shown]
	s_load_dwordx2 s[30:31], s[0:1], 0x0
	s_waitcnt lgkmcnt(0)
	s_and_b32 s38, s4, 0xffff
	s_add_u32 s39, s2, s7
	s_addc_u32 s40, s3, 0
	s_mov_b64 s[34:35], 0
	v_mov_b32_e32 v1, 0
	v_mov_b32_e32 v6, s31
.LBB2_2:                                ; =>This Loop Header: Depth=1
                                        ;     Child Loop BB2_3 Depth 2
	v_pk_mov_b32 v[4:5], 0, 0
	v_lshlrev_b64 v[2:3], 2, v[0:1]
	s_mov_b64 s[36:37], 0
.LBB2_3:                                ;   Parent Loop BB2_2 Depth=1
                                        ; =>  This Inner Loop Header: Depth=2
	s_add_u32 s0, s39, s36
	s_addc_u32 s1, s40, s37
	s_load_dwordx2 s[28:29], s[0:1], 0x0
	s_load_dwordx2 s[2:3], s[0:1], 0x20
	;; [unrolled: 1-line block ×16, first 2 shown]
	s_waitcnt lgkmcnt(0)
	v_mov_b32_e32 v7, s29
	v_add_co_u32_e64 v38, s[28:29], s28, v2
	v_mov_b32_e32 v9, s3
	v_add_co_u32_e32 v8, vcc, s2, v2
	v_mov_b32_e32 v11, s5
	v_add_co_u32_e64 v10, s[0:1], s4, v2
	v_mov_b32_e32 v13, s7
	v_add_co_u32_e64 v12, s[2:3], s6, v2
	;; [unrolled: 2-line block ×14, first 2 shown]
	v_addc_co_u32_e64 v39, s[28:29], v7, v3, s[28:29]
	v_addc_co_u32_e32 v9, vcc, v9, v3, vcc
	v_addc_co_u32_e64 v11, vcc, v11, v3, s[0:1]
	v_addc_co_u32_e64 v13, vcc, v13, v3, s[2:3]
	;; [unrolled: 1-line block ×14, first 2 shown]
	global_load_dword v7, v[38:39], off
	global_load_dword v40, v[8:9], off
	;; [unrolled: 1-line block ×15, first 2 shown]
                                        ; kill: killed $vgpr18 killed $vgpr19
                                        ; kill: killed $vgpr20 killed $vgpr21
                                        ; kill: killed $vgpr22 killed $vgpr23
                                        ; kill: killed $vgpr24 killed $vgpr25
                                        ; kill: killed $vgpr26 killed $vgpr27
                                        ; kill: killed $vgpr8 killed $vgpr9
                                        ; kill: killed $vgpr28 killed $vgpr29
                                        ; kill: killed $vgpr10 killed $vgpr11
                                        ; kill: killed $vgpr30 killed $vgpr31
                                        ; kill: killed $vgpr12 killed $vgpr13
                                        ; kill: killed $vgpr32 killed $vgpr33
                                        ; kill: killed $vgpr38 killed $vgpr39
                                        ; kill: killed $vgpr14 killed $vgpr15
                                        ; kill: killed $vgpr34 killed $vgpr35
                                        ; kill: killed $vgpr16 killed $vgpr17
	global_load_dword v38, v[36:37], off
	s_add_u32 s36, s36, 0x200
	s_addc_u32 s37, s37, 0
	s_cmpk_eq_i32 s36, 0xa00
	s_waitcnt vmcnt(15)
	v_cvt_f64_f32_e32 v[8:9], v7
	s_waitcnt vmcnt(14)
	v_cvt_f64_f32_e32 v[10:11], v40
	v_add_f64 v[4:5], v[4:5], v[8:9]
	s_waitcnt vmcnt(13)
	v_cvt_f64_f32_e32 v[12:13], v41
	v_add_f64 v[4:5], v[4:5], v[10:11]
	;; [unrolled: 3-line block ×14, first 2 shown]
	v_add_f64 v[4:5], v[4:5], v[36:37]
	s_waitcnt vmcnt(0)
	v_cvt_f64_f32_e32 v[38:39], v38
	v_add_f64 v[4:5], v[4:5], v[38:39]
	s_cbranch_scc0 .LBB2_3
; %bb.4:                                ;   in Loop: Header=BB2_2 Depth=1
	v_lshlrev_b64 v[2:3], 3, v[0:1]
	v_add_co_u32_e32 v2, vcc, s30, v2
	v_addc_co_u32_e32 v3, vcc, v6, v3, vcc
	global_load_dwordx2 v[8:9], v[2:3], off
	v_add_u32_e32 v0, s38, v0
	v_cmp_le_u32_e32 vcc, s33, v0
	s_or_b64 s[34:35], vcc, s[34:35]
	s_waitcnt vmcnt(0)
	v_add_f64 v[4:5], v[4:5], v[8:9]
	global_store_dwordx2 v[2:3], v[4:5], off
	s_andn2_b64 exec, exec, s[34:35]
	s_cbranch_execnz .LBB2_2
.LBB2_5:
	s_endpgm
	.section	.rodata,"a",@progbits
	.p2align	6, 0x0
	.amdhsa_kernel _Z26sum_detector_scores_kernelv
		.amdhsa_group_segment_fixed_size 0
		.amdhsa_private_segment_fixed_size 0
		.amdhsa_kernarg_size 256
		.amdhsa_user_sgpr_count 6
		.amdhsa_user_sgpr_private_segment_buffer 1
		.amdhsa_user_sgpr_dispatch_ptr 0
		.amdhsa_user_sgpr_queue_ptr 0
		.amdhsa_user_sgpr_kernarg_segment_ptr 1
		.amdhsa_user_sgpr_dispatch_id 0
		.amdhsa_user_sgpr_flat_scratch_init 0
		.amdhsa_user_sgpr_kernarg_preload_length 0
		.amdhsa_user_sgpr_kernarg_preload_offset 0
		.amdhsa_user_sgpr_private_segment_size 0
		.amdhsa_uses_dynamic_stack 0
		.amdhsa_system_sgpr_private_segment_wavefront_offset 0
		.amdhsa_system_sgpr_workgroup_id_x 1
		.amdhsa_system_sgpr_workgroup_id_y 0
		.amdhsa_system_sgpr_workgroup_id_z 0
		.amdhsa_system_sgpr_workgroup_info 0
		.amdhsa_system_vgpr_workitem_id 0
		.amdhsa_next_free_vgpr 54
		.amdhsa_next_free_sgpr 46
		.amdhsa_accum_offset 56
		.amdhsa_reserve_vcc 1
		.amdhsa_reserve_flat_scratch 0
		.amdhsa_float_round_mode_32 0
		.amdhsa_float_round_mode_16_64 0
		.amdhsa_float_denorm_mode_32 3
		.amdhsa_float_denorm_mode_16_64 3
		.amdhsa_dx10_clamp 1
		.amdhsa_ieee_mode 1
		.amdhsa_fp16_overflow 0
		.amdhsa_tg_split 0
		.amdhsa_exception_fp_ieee_invalid_op 0
		.amdhsa_exception_fp_denorm_src 0
		.amdhsa_exception_fp_ieee_div_zero 0
		.amdhsa_exception_fp_ieee_overflow 0
		.amdhsa_exception_fp_ieee_underflow 0
		.amdhsa_exception_fp_ieee_inexact 0
		.amdhsa_exception_int_div_zero 0
	.end_amdhsa_kernel
	.text
.Lfunc_end2:
	.size	_Z26sum_detector_scores_kernelv, .Lfunc_end2-_Z26sum_detector_scores_kernelv
                                        ; -- End function
	.section	.AMDGPU.csdata,"",@progbits
; Kernel info:
; codeLenInByte = 1164
; NumSgprs: 50
; NumVgprs: 54
; NumAgprs: 0
; TotalNumVgprs: 54
; ScratchSize: 0
; MemoryBound: 0
; FloatMode: 240
; IeeeMode: 1
; LDSByteSize: 0 bytes/workgroup (compile time only)
; SGPRBlocks: 6
; VGPRBlocks: 6
; NumSGPRsForWavesPerEU: 50
; NumVGPRsForWavesPerEU: 54
; AccumOffset: 56
; Occupancy: 8
; WaveLimiterHint : 0
; COMPUTE_PGM_RSRC2:SCRATCH_EN: 0
; COMPUTE_PGM_RSRC2:USER_SGPR: 6
; COMPUTE_PGM_RSRC2:TRAP_HANDLER: 0
; COMPUTE_PGM_RSRC2:TGID_X_EN: 1
; COMPUTE_PGM_RSRC2:TGID_Y_EN: 0
; COMPUTE_PGM_RSRC2:TGID_Z_EN: 0
; COMPUTE_PGM_RSRC2:TIDIG_COMP_CNT: 0
; COMPUTE_PGM_RSRC3_GFX90A:ACCUM_OFFSET: 13
; COMPUTE_PGM_RSRC3_GFX90A:TG_SPLIT: 0
	.text
	.p2alignl 6, 3212836864
	.fill 256, 4, 3212836864
	.protected	stack                   ; @stack
	.type	stack,@object
	.section	.rodata,"a",@progbits
	.globl	stack
	.p2align	3, 0x0
stack:
	.zero	24
	.size	stack, 24

	.protected	total_list_depth        ; @total_list_depth
	.type	total_list_depth,@object
	.globl	total_list_depth
	.p2align	3, 0x0
total_list_depth:
	.quad	0
	.size	total_list_depth, 8

	.protected	total_num_inner_iterations ; @total_num_inner_iterations
	.type	total_num_inner_iterations,@object
	.globl	total_num_inner_iterations
	.p2align	3, 0x0
total_num_inner_iterations:
	.quad	0
	.size	total_num_inner_iterations, 8

	.protected	detector_scores_count   ; @detector_scores_count
	.type	detector_scores_count,@object
	.globl	detector_scores_count
	.p2align	4, 0x0
detector_scores_count:
	.zero	2560
	.size	detector_scores_count, 2560

	.protected	detector_scores_energy  ; @detector_scores_energy
	.type	detector_scores_energy,@object
	.globl	detector_scores_energy
	.p2align	4, 0x0
detector_scores_energy:
	.zero	2560
	.size	detector_scores_energy, 2560

	.protected	detector_totals_count   ; @detector_totals_count
	.type	detector_totals_count,@object
	.globl	detector_totals_count
	.p2align	4, 0x0
detector_totals_count:
	.zero	32
	.size	detector_totals_count, 32

	.protected	detector_totals_energy  ; @detector_totals_energy
	.type	detector_totals_energy,@object
	.globl	detector_totals_energy
	.p2align	4, 0x0
detector_totals_energy:
	.zero	32
	.size	detector_totals_energy, 32

	.protected	total_weights           ; @total_weights
	.type	total_weights,@object
	.globl	total_weights
	.p2align	3, 0x0
total_weights:
	.quad	0
	.size	total_weights, 8

	.protected	total_step_counts       ; @total_step_counts
	.type	total_step_counts,@object
	.globl	total_step_counts
	.p2align	3, 0x0
total_step_counts:
	.quad	0
	.size	total_step_counts, 8

	.protected	MT_statuses             ; @MT_statuses
	.type	MT_statuses,@object
	.globl	MT_statuses
	.p2align	3, 0x0
MT_statuses:
	.quad	0
	.size	MT_statuses, 8

	.protected	MT_params               ; @MT_params
	.type	MT_params,@object
	.globl	MT_params
	.p2align	3, 0x0
MT_params:
	.quad	0
	.size	MT_params, 8

	.protected	MT_tables               ; @MT_tables
	.type	MT_tables,@object
	.globl	MT_tables
	.p2align	3, 0x0
MT_tables:
	.quad	0
	.size	MT_tables, 8

	.protected	detector                ; @detector
	.type	detector,@object
	.globl	detector
	.p2align	3, 0x0
detector:
	.zero	32
	.size	detector, 32

	.protected	source                  ; @source
	.type	source,@object
	.globl	source
	.p2align	3, 0x0
source:
	.zero	80
	.size	source, 80

	.protected	phantom                 ; @phantom
	.type	phantom,@object
	.globl	phantom
	.p2align	3, 0x0
phantom:
	.zero	40
	.size	phantom, 40

	.protected	region_data             ; @region_data
	.type	region_data,@object
	.globl	region_data
	.p2align	3, 0x0
region_data:
	.quad	0
	.size	region_data, 8

	.protected	ge                      ; @ge
	.type	ge,@object
	.globl	ge
	.p2align	3, 0x0
ge:
	.quad	0
	.size	ge, 8

	.protected	gmfp                    ; @gmfp
	.type	gmfp,@object
	.globl	gmfp
	.p2align	3, 0x0
gmfp:
	.quad	0
	.size	gmfp, 8

	.protected	gbr1                    ; @gbr1
	.type	gbr1,@object
	.globl	gbr1
	.p2align	3, 0x0
gbr1:
	.quad	0
	.size	gbr1, 8

	.protected	gbr2                    ; @gbr2
	.type	gbr2,@object
	.globl	gbr2
	.p2align	3, 0x0
gbr2:
	.quad	0
	.size	gbr2, 8

	.protected	cohe                    ; @cohe
	.type	cohe,@object
	.globl	cohe
	.p2align	3, 0x0
cohe:
	.quad	0
	.size	cohe, 8

	.protected	pmax                    ; @pmax
	.type	pmax,@object
	.globl	pmax
	.p2align	3, 0x0
pmax:
	.quad	0
	.size	pmax, 8

	.protected	rayleigh_data           ; @rayleigh_data
	.type	rayleigh_data,@object
	.globl	rayleigh_data
	.p2align	3, 0x0
rayleigh_data:
	.quad	0
	.size	rayleigh_data, 8

	.protected	i_array                 ; @i_array
	.type	i_array,@object
	.globl	i_array
	.p2align	3, 0x0
i_array:
	.quad	0
	.size	i_array, 8

	.type	__hip_cuid_e15e586691df0ee3,@object ; @__hip_cuid_e15e586691df0ee3
	.section	.bss,"aw",@nobits
	.globl	__hip_cuid_e15e586691df0ee3
__hip_cuid_e15e586691df0ee3:
	.byte	0                               ; 0x0
	.size	__hip_cuid_e15e586691df0ee3, 1

	.ident	"AMD clang version 19.0.0git (https://github.com/RadeonOpenCompute/llvm-project roc-6.4.0 25133 c7fe45cf4b819c5991fe208aaa96edf142730f1d)"
	.section	".note.GNU-stack","",@progbits
	.addrsig
	.addrsig_sym stack
	.addrsig_sym total_list_depth
	.addrsig_sym total_num_inner_iterations
	.addrsig_sym detector_scores_count
	.addrsig_sym detector_scores_energy
	.addrsig_sym detector_totals_count
	.addrsig_sym detector_totals_energy
	.addrsig_sym total_weights
	.addrsig_sym total_step_counts
	.addrsig_sym MT_statuses
	.addrsig_sym MT_params
	.addrsig_sym MT_tables
	.addrsig_sym detector
	.addrsig_sym source
	.addrsig_sym phantom
	.addrsig_sym region_data
	.addrsig_sym ge
	.addrsig_sym gmfp
	.addrsig_sym gbr1
	.addrsig_sym gbr2
	.addrsig_sym cohe
	.addrsig_sym pmax
	.addrsig_sym rayleigh_data
	.addrsig_sym i_array
	.addrsig_sym __hip_cuid_e15e586691df0ee3
	.amdgpu_metadata
---
amdhsa.kernels:
  - .agpr_count:     0
    .args:
      - .offset:         0
        .size:           1
        .value_kind:     by_value
      - .offset:         1
        .size:           1
        .value_kind:     by_value
      - .offset:         8
        .size:           4
        .value_kind:     hidden_block_count_x
      - .offset:         12
        .size:           4
        .value_kind:     hidden_block_count_y
      - .offset:         16
        .size:           4
        .value_kind:     hidden_block_count_z
      - .offset:         20
        .size:           2
        .value_kind:     hidden_group_size_x
      - .offset:         22
        .size:           2
        .value_kind:     hidden_group_size_y
      - .offset:         24
        .size:           2
        .value_kind:     hidden_group_size_z
      - .offset:         26
        .size:           2
        .value_kind:     hidden_remainder_x
      - .offset:         28
        .size:           2
        .value_kind:     hidden_remainder_y
      - .offset:         30
        .size:           2
        .value_kind:     hidden_remainder_z
      - .offset:         48
        .size:           8
        .value_kind:     hidden_global_offset_x
      - .offset:         56
        .size:           8
        .value_kind:     hidden_global_offset_y
      - .offset:         64
        .size:           8
        .value_kind:     hidden_global_offset_z
      - .offset:         72
        .size:           2
        .value_kind:     hidden_grid_dims
    .group_segment_fixed_size: 17808
    .kernarg_segment_align: 8
    .kernarg_segment_size: 264
    .language:       OpenCL C
    .language_version:
      - 2
      - 0
    .max_flat_workgroup_size: 1024
    .name:           _Z22simulation_step_kernelbb
    .private_segment_fixed_size: 176
    .sgpr_count:     106
    .sgpr_spill_count: 30
    .symbol:         _Z22simulation_step_kernelbb.kd
    .uniform_work_group_size: 1
    .uses_dynamic_stack: false
    .vgpr_count:     128
    .vgpr_spill_count: 41
    .wavefront_size: 64
  - .agpr_count:     0
    .args:
      - .offset:         0
        .size:           4
        .value_kind:     hidden_block_count_x
      - .offset:         4
        .size:           4
        .value_kind:     hidden_block_count_y
      - .offset:         8
        .size:           4
        .value_kind:     hidden_block_count_z
      - .offset:         12
        .size:           2
        .value_kind:     hidden_group_size_x
      - .offset:         14
        .size:           2
        .value_kind:     hidden_group_size_y
      - .offset:         16
        .size:           2
        .value_kind:     hidden_group_size_z
      - .offset:         18
        .size:           2
        .value_kind:     hidden_remainder_x
      - .offset:         20
        .size:           2
        .value_kind:     hidden_remainder_y
      - .offset:         22
        .size:           2
        .value_kind:     hidden_remainder_z
      - .offset:         40
        .size:           8
        .value_kind:     hidden_global_offset_x
      - .offset:         48
        .size:           8
        .value_kind:     hidden_global_offset_y
      - .offset:         56
        .size:           8
        .value_kind:     hidden_global_offset_z
      - .offset:         64
        .size:           2
        .value_kind:     hidden_grid_dims
    .group_segment_fixed_size: 0
    .kernarg_segment_align: 8
    .kernarg_segment_size: 256
    .language:       OpenCL C
    .language_version:
      - 2
      - 0
    .max_flat_workgroup_size: 1024
    .name:           _Z26sum_detector_scores_kernelv
    .private_segment_fixed_size: 0
    .sgpr_count:     50
    .sgpr_spill_count: 0
    .symbol:         _Z26sum_detector_scores_kernelv.kd
    .uniform_work_group_size: 1
    .uses_dynamic_stack: false
    .vgpr_count:     54
    .vgpr_spill_count: 0
    .wavefront_size: 64
amdhsa.target:   amdgcn-amd-amdhsa--gfx90a
amdhsa.version:
  - 1
  - 2
...

	.end_amdgpu_metadata
